;; amdgpu-corpus repo=ROCm/rocFFT kind=compiled arch=gfx1030 opt=O3
	.text
	.amdgcn_target "amdgcn-amd-amdhsa--gfx1030"
	.amdhsa_code_object_version 6
	.protected	bluestein_single_fwd_len816_dim1_dp_op_CI_CI ; -- Begin function bluestein_single_fwd_len816_dim1_dp_op_CI_CI
	.globl	bluestein_single_fwd_len816_dim1_dp_op_CI_CI
	.p2align	8
	.type	bluestein_single_fwd_len816_dim1_dp_op_CI_CI,@function
bluestein_single_fwd_len816_dim1_dp_op_CI_CI: ; @bluestein_single_fwd_len816_dim1_dp_op_CI_CI
; %bb.0:
	v_mul_u32_u24_e32 v1, 0x506, v0
	s_mov_b64 s[62:63], s[2:3]
	s_mov_b64 s[60:61], s[0:1]
	s_load_dwordx4 s[0:3], s[4:5], 0x28
	s_add_u32 s60, s60, s7
	v_lshrrev_b32_e32 v1, 16, v1
	s_addc_u32 s61, s61, 0
	v_mov_b32_e32 v4, 0
	v_add_nc_u32_e32 v3, s6, v1
	v_mov_b32_e32 v2, v3
	buffer_store_dword v2, off, s[60:63], 0 offset:4 ; 4-byte Folded Spill
	buffer_store_dword v3, off, s[60:63], 0 offset:8 ; 4-byte Folded Spill
	s_waitcnt lgkmcnt(0)
	v_cmp_gt_u64_e32 vcc_lo, s[0:1], v[3:4]
	s_and_saveexec_b32 s0, vcc_lo
	s_cbranch_execz .LBB0_23
; %bb.1:
	v_mul_lo_u16 v1, v1, 51
	s_clause 0x1
	s_load_dwordx2 s[12:13], s[4:5], 0x0
	s_load_dwordx2 s[14:15], s[4:5], 0x38
	v_sub_nc_u16 v0, v0, v1
	v_and_b32_e32 v1, 0xffff, v0
	v_cmp_gt_u16_e32 vcc_lo, 48, v0
	v_or_b32_e32 v0, 0xc0, v1
	v_lshlrev_b32_e32 v255, 4, v1
	buffer_store_dword v0, off, s[60:63], 0 offset:416 ; 4-byte Folded Spill
	v_or_b32_e32 v0, 0x180, v1
	buffer_store_dword v0, off, s[60:63], 0 offset:412 ; 4-byte Folded Spill
	v_or_b32_e32 v0, 0x240, v1
	buffer_store_dword v0, off, s[60:63], 0 offset:408 ; 4-byte Folded Spill
	buffer_store_dword v1, off, s[60:63], 0 ; 4-byte Folded Spill
	v_or_b32_e32 v0, 0x300, v1
	buffer_store_dword v0, off, s[60:63], 0 offset:404 ; 4-byte Folded Spill
	s_and_saveexec_b32 s1, vcc_lo
	s_cbranch_execz .LBB0_3
; %bb.2:
	buffer_load_dword v44, off, s[60:63], 0 ; 4-byte Folded Reload
	s_load_dwordx2 s[6:7], s[4:5], 0x18
	s_waitcnt lgkmcnt(0)
	v_add_co_u32 v4, s0, s12, v255
	v_add_co_ci_u32_e64 v5, null, s13, 0, s0
	global_load_dwordx4 v[0:3], v255, s[12:13]
	v_add_co_u32 v22, s0, 0x800, v4
	v_add_co_ci_u32_e64 v23, s0, 0, v5, s0
	v_add_co_u32 v30, s0, 0x1000, v4
	v_add_co_ci_u32_e64 v31, s0, 0, v5, s0
	s_load_dwordx4 s[8:11], s[6:7], 0x0
	s_waitcnt lgkmcnt(0)
	s_mul_i32 s0, s9, 0x300
	s_mul_i32 s6, s8, 0x300
	;; [unrolled: 1-line block ×3, first 2 shown]
	s_mul_hi_u32 s17, s8, 0x600
	s_mul_i32 s7, s8, 0x600
	s_add_i32 s17, s17, s16
	s_waitcnt vmcnt(1)
	v_or_b32_e32 v46, 0xc0, v44
	v_mad_u64_u32 v[36:37], null, s8, v44, 0
	v_or_b32_e32 v73, 0x180, v44
	v_or_b32_e32 v86, 0x240, v44
	v_lshlrev_b32_e32 v14, 4, v46
	v_mad_u64_u32 v[38:39], null, s8, v46, 0
	s_clause 0x6
	global_load_dwordx4 v[6:9], v255, s[12:13] offset:768
	global_load_dwordx4 v[10:13], v255, s[12:13] offset:1536
	global_load_dwordx4 v[14:17], v14, s[12:13]
	global_load_dwordx4 v[18:21], v[22:23], off offset:256
	global_load_dwordx4 v[22:25], v[22:23], off offset:1792
	;; [unrolled: 1-line block ×4, first 2 shown]
	s_clause 0x1
	buffer_load_dword v34, off, s[60:63], 0 offset:4
	buffer_load_dword v35, off, s[60:63], 0 offset:8
	v_or_b32_e32 v89, 0x300, v44
	v_mad_u64_u32 v[40:41], null, s8, v73, 0
	v_mad_u64_u32 v[66:67], null, s8, v86, 0
	;; [unrolled: 1-line block ×3, first 2 shown]
	v_lshlrev_b32_e32 v88, 4, v86
	v_lshlrev_b32_e32 v90, 4, v89
	v_mad_u64_u32 v[46:47], null, s9, v46, v[39:40]
	v_mov_b32_e32 v45, v79
	v_mov_b32_e32 v39, v46
	s_waitcnt vmcnt(1)
	v_mov_b32_e32 v43, v34
	s_waitcnt vmcnt(0)
	v_mad_u64_u32 v[34:35], null, s10, v43, 0
	s_mul_hi_u32 s10, s8, 0x300
	s_add_i32 s10, s10, s0
	v_mad_u64_u32 v[42:43], null, s11, v43, v[35:36]
	v_mad_u64_u32 v[43:44], null, s9, v44, v[37:38]
	v_mov_b32_e32 v44, v67
	v_mov_b32_e32 v35, v42
	v_mad_u64_u32 v[41:42], null, s9, v73, v[41:42]
	v_mov_b32_e32 v37, v43
	v_mad_u64_u32 v[67:68], null, s9, v86, v[44:45]
	v_lshlrev_b64 v[34:35], 4, v[34:35]
	v_mad_u64_u32 v[68:69], null, s9, v89, v[45:46]
	v_lshlrev_b64 v[36:37], 4, v[36:37]
	v_lshlrev_b64 v[69:70], 4, v[40:41]
	v_lshlrev_b32_e32 v73, 4, v73
	v_add_co_u32 v84, s0, s2, v34
	v_add_co_ci_u32_e64 v85, s0, s3, v35, s0
	v_lshlrev_b64 v[34:35], 4, v[38:39]
	v_add_co_u32 v42, s0, v84, v36
	v_add_co_ci_u32_e64 v43, s0, v85, v37, s0
	v_mov_b32_e32 v79, v68
	v_add_co_u32 v44, s0, v42, s6
	v_add_co_ci_u32_e64 v45, s0, s10, v43, s0
	v_lshlrev_b64 v[82:83], 4, v[66:67]
	v_add_co_u32 v46, s0, v44, s6
	v_add_co_ci_u32_e64 v47, s0, s10, v45, s0
	v_lshlrev_b64 v[78:79], 4, v[78:79]
	v_add_co_u32 v50, s0, v46, s6
	v_add_co_ci_u32_e64 v51, s0, s10, v47, s0
	v_add_co_u32 v34, s0, v84, v34
	v_add_co_ci_u32_e64 v35, s0, v85, v35, s0
	;; [unrolled: 2-line block ×3, first 2 shown]
	global_load_dwordx4 v[34:37], v[34:35], off
	v_add_co_u32 v58, s0, v54, s6
	v_add_co_ci_u32_e64 v59, s0, s10, v55, s0
	s_clause 0x1
	global_load_dwordx4 v[38:41], v[42:43], off
	global_load_dwordx4 v[42:45], v[44:45], off
	v_add_co_u32 v71, s0, v58, s6
	v_add_co_ci_u32_e64 v72, s0, s10, v59, s0
	v_add_co_u32 v69, s0, v84, v69
	v_add_co_ci_u32_e64 v70, s0, v85, v70, s0
	;; [unrolled: 2-line block ×5, first 2 shown]
	s_clause 0x2
	global_load_dwordx4 v[46:49], v[46:47], off
	global_load_dwordx4 v[50:53], v[50:51], off
	global_load_dwordx4 v[54:57], v[54:55], off
	global_load_dwordx4 v[58:61], v[58:59], off
	global_load_dwordx4 v[62:65], v[71:72], off
	global_load_dwordx4 v[66:69], v[69:70], off
	global_load_dwordx4 v[70:73], v73, s[12:13]
	global_load_dwordx4 v[74:77], v[80:81], off
	v_add_co_u32 v98, s0, v80, s6
	v_add_co_ci_u32_e64 v99, s0, s10, v81, s0
	global_load_dwordx4 v[78:81], v[82:83], off
	global_load_dwordx4 v[82:85], v88, s[12:13]
	global_load_dwordx4 v[86:89], v[86:87], off
	global_load_dwordx4 v[90:93], v90, s[12:13]
	v_add_co_u32 v102, s0, 0x1800, v4
	v_add_co_ci_u32_e64 v103, s0, 0, v5, s0
	v_add_co_u32 v106, s0, v98, s6
	v_add_co_ci_u32_e64 v107, s0, s10, v99, s0
	;; [unrolled: 2-line block ×4, first 2 shown]
	global_load_dwordx4 v[94:97], v[98:99], off
	v_add_co_u32 v122, s0, v120, s6
	v_add_co_ci_u32_e64 v123, s0, s10, v121, s0
	v_add_co_u32 v4, s0, 0x2800, v4
	v_add_co_ci_u32_e64 v5, s0, 0, v5, s0
	v_add_co_u32 v134, s0, v122, s6
	s_clause 0x1
	global_load_dwordx4 v[98:101], v[102:103], off offset:768
	global_load_dwordx4 v[102:105], v[102:103], off offset:1536
	global_load_dwordx4 v[106:109], v[106:107], off
	global_load_dwordx4 v[110:113], v[118:119], off offset:256
	global_load_dwordx4 v[114:117], v[120:121], off
	v_add_co_ci_u32_e64 v135, s0, s10, v123, s0
	global_load_dwordx4 v[118:121], v[118:119], off offset:1792
	global_load_dwordx4 v[122:125], v[122:123], off
	s_clause 0x1
	global_load_dwordx4 v[126:129], v[4:5], off offset:512
	global_load_dwordx4 v[130:133], v[4:5], off offset:1280
	global_load_dwordx4 v[134:137], v[134:135], off
	s_waitcnt vmcnt(25)
	v_mul_f64 v[140:141], v[36:37], v[16:17]
	v_mul_f64 v[16:17], v[34:35], v[16:17]
	s_waitcnt vmcnt(24)
	v_mul_f64 v[4:5], v[40:41], v[2:3]
	v_mul_f64 v[138:139], v[38:39], v[2:3]
	s_waitcnt vmcnt(23)
	v_mul_f64 v[148:149], v[44:45], v[8:9]
	v_mul_f64 v[150:151], v[42:43], v[8:9]
	s_waitcnt vmcnt(22)
	v_mul_f64 v[152:153], v[48:49], v[12:13]
	v_mul_f64 v[154:155], v[46:47], v[12:13]
	s_waitcnt vmcnt(21)
	v_mul_f64 v[156:157], v[52:53], v[20:21]
	v_mul_f64 v[20:21], v[50:51], v[20:21]
	s_waitcnt vmcnt(16)
	v_mul_f64 v[142:143], v[68:69], v[72:73]
	v_mul_f64 v[72:73], v[66:67], v[72:73]
	v_mul_f64 v[158:159], v[56:57], v[24:25]
	v_mul_f64 v[24:25], v[54:55], v[24:25]
	s_waitcnt vmcnt(13)
	v_mul_f64 v[144:145], v[80:81], v[84:85]
	v_mul_f64 v[84:85], v[78:79], v[84:85]
	s_waitcnt vmcnt(11)
	v_mul_f64 v[146:147], v[88:89], v[92:93]
	v_fma_f64 v[2:3], v[38:39], v[0:1], v[4:5]
	v_fma_f64 v[4:5], v[40:41], v[0:1], -v[138:139]
	v_mul_f64 v[0:1], v[60:61], v[28:29]
	v_mul_f64 v[28:29], v[58:59], v[28:29]
	v_fma_f64 v[42:43], v[42:43], v[6:7], v[148:149]
	v_fma_f64 v[44:45], v[44:45], v[6:7], -v[150:151]
	v_mul_f64 v[6:7], v[64:65], v[32:33]
	;; [unrolled: 4-line block ×3, first 2 shown]
	v_fma_f64 v[46:47], v[46:47], v[10:11], v[152:153]
	v_fma_f64 v[48:49], v[48:49], v[10:11], -v[154:155]
	v_fma_f64 v[16:17], v[50:51], v[18:19], v[156:157]
	v_fma_f64 v[18:19], v[52:53], v[18:19], -v[20:21]
	;; [unrolled: 2-line block ×5, first 2 shown]
	v_fma_f64 v[8:9], v[86:87], v[90:91], v[146:147]
	s_waitcnt vmcnt(9)
	v_mul_f64 v[66:67], v[76:77], v[100:101]
	v_mul_f64 v[68:69], v[74:75], v[100:101]
	s_waitcnt vmcnt(8)
	v_mul_f64 v[70:71], v[96:97], v[104:105]
	v_mul_f64 v[72:73], v[94:95], v[104:105]
	;; [unrolled: 3-line block ×6, first 2 shown]
	v_fma_f64 v[24:25], v[58:59], v[26:27], v[0:1]
	v_fma_f64 v[26:27], v[60:61], v[26:27], -v[28:29]
	v_fma_f64 v[28:29], v[62:63], v[30:31], v[6:7]
	v_fma_f64 v[30:31], v[64:65], v[30:31], -v[32:33]
	v_fma_f64 v[10:11], v[88:89], v[90:91], -v[92:93]
	v_fma_f64 v[50:51], v[74:75], v[98:99], v[66:67]
	v_fma_f64 v[52:53], v[76:77], v[98:99], -v[68:69]
	v_fma_f64 v[54:55], v[94:95], v[102:103], v[70:71]
	;; [unrolled: 2-line block ×6, first 2 shown]
	v_fma_f64 v[72:73], v[136:137], v[130:131], -v[112:113]
	ds_write_b128 v255, v[2:5]
	ds_write_b128 v255, v[12:15] offset:3072
	ds_write_b128 v255, v[34:37] offset:6144
	;; [unrolled: 1-line block ×16, first 2 shown]
.LBB0_3:
	s_or_b32 exec_lo, exec_lo, s1
	s_clause 0x1
	s_load_dwordx2 s[0:1], s[4:5], 0x20
	s_load_dwordx2 s[2:3], s[4:5], 0x8
	s_waitcnt lgkmcnt(0)
	s_waitcnt_vscnt null, 0x0
	s_barrier
	buffer_gl0_inv
                                        ; implicit-def: $vgpr0_vgpr1
                                        ; implicit-def: $vgpr64_vgpr65
                                        ; implicit-def: $vgpr60_vgpr61
                                        ; implicit-def: $vgpr56_vgpr57
                                        ; implicit-def: $vgpr52_vgpr53
                                        ; implicit-def: $vgpr48_vgpr49
                                        ; implicit-def: $vgpr44_vgpr45
                                        ; implicit-def: $vgpr40_vgpr41
                                        ; implicit-def: $vgpr36_vgpr37
                                        ; implicit-def: $vgpr32_vgpr33
                                        ; implicit-def: $vgpr28_vgpr29
                                        ; implicit-def: $vgpr24_vgpr25
                                        ; implicit-def: $vgpr20_vgpr21
                                        ; implicit-def: $vgpr16_vgpr17
                                        ; implicit-def: $vgpr12_vgpr13
                                        ; implicit-def: $vgpr8_vgpr9
                                        ; implicit-def: $vgpr4_vgpr5
	s_and_saveexec_b32 s4, vcc_lo
	s_cbranch_execz .LBB0_5
; %bb.4:
	ds_read_b128 v[0:3], v255
	ds_read_b128 v[64:67], v255 offset:768
	ds_read_b128 v[60:63], v255 offset:1536
	;; [unrolled: 1-line block ×16, first 2 shown]
.LBB0_5:
	s_or_b32 exec_lo, exec_lo, s4
	s_waitcnt lgkmcnt(0)
	v_add_f64 v[164:165], v[66:67], -v[6:7]
	v_add_f64 v[160:161], v[64:65], -v[4:5]
	s_mov_b32 s4, 0x5d8e7cdc
	s_mov_b32 s5, 0xbfd71e95
	v_add_f64 v[156:157], v[64:65], v[4:5]
	v_add_f64 v[166:167], v[66:67], v[6:7]
	v_add_f64 v[110:111], v[62:63], -v[10:11]
	v_add_f64 v[70:71], v[60:61], -v[8:9]
	s_mov_b32 s6, 0x370991
	s_mov_b32 s18, 0x2a9d6da3
	;; [unrolled: 1-line block ×4, first 2 shown]
	v_add_f64 v[68:69], v[60:61], v[8:9]
	v_add_f64 v[112:113], v[62:63], v[10:11]
	v_add_f64 v[108:109], v[58:59], -v[14:15]
	v_add_f64 v[74:75], v[56:57], -v[12:13]
	s_mov_b32 s8, 0x75d4884
	s_mov_b32 s10, 0x7c9e640b
	s_mov_b32 s9, 0x3fe7a5f6
	s_mov_b32 s11, 0xbfeca52d
	v_add_f64 v[72:73], v[56:57], v[12:13]
	v_add_f64 v[118:119], v[58:59], v[14:15]
	v_mul_f64 v[158:159], v[164:165], s[4:5]
	v_mul_f64 v[162:163], v[160:161], s[4:5]
	v_add_f64 v[92:93], v[52:53], -v[16:17]
	v_add_f64 v[114:115], v[54:55], -v[18:19]
	s_mov_b32 s16, 0x2b2883cd
	s_mov_b32 s20, 0xeb564b22
	v_mul_f64 v[98:99], v[110:111], s[18:19]
	v_mul_f64 v[102:103], v[70:71], s[18:19]
	s_mov_b32 s17, 0x3fdc86fa
	s_mov_b32 s21, 0xbfefdd0d
	v_add_f64 v[132:133], v[54:55], v[18:19]
	v_add_f64 v[106:107], v[50:51], -v[22:23]
	s_mov_b32 s22, 0x3259b75e
	s_mov_b32 s24, 0x923c349f
	v_mul_f64 v[104:105], v[108:109], s[10:11]
	v_mul_f64 v[120:121], v[74:75], s[10:11]
	s_mov_b32 s23, 0x3fb79ee6
	s_mov_b32 s25, 0xbfeec746
	v_add_f64 v[134:135], v[50:51], v[22:23]
	v_add_f64 v[126:127], v[46:47], -v[26:27]
	s_mov_b32 s26, 0xc61f0d01
	s_mov_b32 s34, 0x6c9a05f6
	v_fma_f64 v[76:77], v[156:157], s[6:7], v[158:159]
	v_fma_f64 v[78:79], v[166:167], s[6:7], -v[162:163]
	v_mul_f64 v[124:125], v[92:93], s[20:21]
	v_mul_f64 v[116:117], v[114:115], s[20:21]
	s_mov_b32 s27, 0xbfd183b1
	s_mov_b32 s35, 0xbfe9895b
	v_fma_f64 v[80:81], v[68:69], s[8:9], v[98:99]
	v_fma_f64 v[82:83], v[112:113], s[8:9], -v[102:103]
	v_add_f64 v[146:147], v[46:47], v[26:27]
	v_add_f64 v[140:141], v[42:43], -v[30:31]
	s_mov_b32 s36, 0x6ed5f1bb
	v_mul_f64 v[122:123], v[106:107], s[24:25]
	s_mov_b32 s28, 0x4363dd80
	s_mov_b32 s37, 0xbfe348c8
	v_fma_f64 v[88:89], v[72:73], s[16:17], v[104:105]
	v_fma_f64 v[90:91], v[118:119], s[16:17], -v[120:121]
	s_mov_b32 s29, 0xbfe0d888
	v_add_f64 v[152:153], v[42:43], v[30:31]
	v_add_f64 v[150:151], v[38:39], -v[34:35]
	v_mul_f64 v[130:131], v[126:127], s[34:35]
	s_mov_b32 s30, 0x910ea3b9
	s_mov_b32 s40, 0xacd6c6b4
	v_add_f64 v[84:85], v[0:1], v[76:77]
	v_add_f64 v[86:87], v[2:3], v[78:79]
	;; [unrolled: 1-line block ×3, first 2 shown]
	v_add_f64 v[78:79], v[48:49], -v[20:21]
	v_fma_f64 v[96:97], v[132:133], s[22:23], -v[124:125]
	s_mov_b32 s31, 0xbfeb34fa
	s_mov_b32 s41, 0xbfc7851a
	v_add_f64 v[154:155], v[38:39], v[34:35]
	s_mov_b32 s38, 0x7faef3
	v_mul_f64 v[142:143], v[140:141], s[28:29]
	s_mov_b32 s39, 0xbfef7484
	s_barrier
	buffer_gl0_inv
	v_add_f64 v[80:81], v[80:81], v[84:85]
	v_add_f64 v[82:83], v[82:83], v[86:87]
	v_add_f64 v[86:87], v[48:49], v[20:21]
	v_add_f64 v[84:85], v[44:45], -v[24:25]
	v_mul_f64 v[128:129], v[78:79], s[24:25]
	v_fma_f64 v[94:95], v[76:77], s[22:23], v[116:117]
	v_add_f64 v[80:81], v[88:89], v[80:81]
	v_add_f64 v[82:83], v[90:91], v[82:83]
	;; [unrolled: 1-line block ×3, first 2 shown]
	v_add_f64 v[90:91], v[40:41], -v[28:29]
	v_mul_f64 v[136:137], v[84:85], s[34:35]
	v_fma_f64 v[100:101], v[86:87], s[26:27], v[122:123]
	v_fma_f64 v[138:139], v[134:135], s[26:27], -v[128:129]
	v_add_f64 v[80:81], v[94:95], v[80:81]
	v_add_f64 v[82:83], v[96:97], v[82:83]
	;; [unrolled: 1-line block ×3, first 2 shown]
	v_add_f64 v[94:95], v[36:37], -v[32:33]
	v_mul_f64 v[148:149], v[90:91], s[28:29]
	v_fma_f64 v[168:169], v[88:89], s[36:37], v[130:131]
	v_fma_f64 v[170:171], v[146:147], s[36:37], -v[136:137]
	v_add_f64 v[80:81], v[100:101], v[80:81]
	v_add_f64 v[82:83], v[138:139], v[82:83]
	;; [unrolled: 1-line block ×3, first 2 shown]
	v_mul_f64 v[138:139], v[150:151], s[40:41]
	v_mul_f64 v[144:145], v[94:95], s[40:41]
	v_fma_f64 v[172:173], v[96:97], s[30:31], v[142:143]
	v_fma_f64 v[174:175], v[152:153], s[30:31], -v[148:149]
	v_add_f64 v[80:81], v[168:169], v[80:81]
	v_add_f64 v[82:83], v[170:171], v[82:83]
	v_fma_f64 v[168:169], v[100:101], s[38:39], v[138:139]
	v_fma_f64 v[170:171], v[154:155], s[38:39], -v[144:145]
	v_add_f64 v[80:81], v[172:173], v[80:81]
	v_add_f64 v[82:83], v[174:175], v[82:83]
	;; [unrolled: 1-line block ×4, first 2 shown]
	s_and_saveexec_b32 s33, vcc_lo
	s_cbranch_execz .LBB0_7
; %bb.6:
	v_mul_f64 v[172:173], v[166:167], s[38:39]
	s_mov_b32 s45, 0x3fc7851a
	s_mov_b32 s44, s40
	v_mul_f64 v[170:171], v[164:165], s[40:41]
	v_mul_f64 v[168:169], v[112:113], s[6:7]
	s_mov_b32 s43, 0x3fd71e95
	s_mov_b32 s42, s4
	v_add_f64 v[66:67], v[2:3], v[66:67]
	v_add_f64 v[64:65], v[0:1], v[64:65]
	v_mul_f64 v[174:175], v[118:119], s[30:31]
	v_mul_f64 v[188:189], v[110:111], s[42:43]
	s_mov_b32 s47, 0x3fe0d888
	s_mov_b32 s46, s28
	v_mul_f64 v[176:177], v[108:109], s[28:29]
	v_mul_f64 v[178:179], v[132:133], s[8:9]
	;; [unrolled: 1-line block ×4, first 2 shown]
	s_mov_b32 s53, 0x3fe58eea
	s_mov_b32 s52, s18
	;; [unrolled: 1-line block ×4, first 2 shown]
	v_mul_f64 v[180:181], v[134:135], s[36:37]
	v_fma_f64 v[186:187], v[160:161], s[44:45], v[172:173]
	v_fma_f64 v[172:173], v[160:161], s[40:41], v[172:173]
	v_mul_f64 v[202:203], v[112:113], s[16:17]
	v_fma_f64 v[190:191], v[156:157], s[38:39], v[170:171]
	v_fma_f64 v[212:213], v[70:71], s[4:5], v[168:169]
	v_fma_f64 v[170:171], v[156:157], s[38:39], -v[170:171]
	v_fma_f64 v[168:169], v[70:71], s[42:43], v[168:169]
	v_add_f64 v[62:63], v[66:67], v[62:63]
	v_add_f64 v[60:61], v[64:65], v[60:61]
	v_fma_f64 v[238:239], v[74:75], s[46:47], v[174:175]
	v_fma_f64 v[214:215], v[68:69], s[6:7], v[188:189]
	v_mul_f64 v[222:223], v[166:167], s[36:37]
	v_mul_f64 v[230:231], v[164:165], s[34:35]
	;; [unrolled: 1-line block ×3, first 2 shown]
	v_fma_f64 v[174:175], v[74:75], s[28:29], v[174:175]
	v_fma_f64 v[228:229], v[160:161], s[46:47], v[198:199]
	;; [unrolled: 1-line block ×5, first 2 shown]
	s_mov_b32 s57, 0x3fe9895b
	s_mov_b32 s56, s34
	s_mov_b32 s55, 0x3feec746
	v_add_f64 v[186:187], v[2:3], v[186:187]
	v_add_f64 v[172:173], v[2:3], v[172:173]
	s_mov_b32 s54, s24
	v_add_f64 v[190:191], v[0:1], v[190:191]
	v_mul_f64 v[182:183], v[106:107], s[34:35]
	v_add_f64 v[170:171], v[0:1], v[170:171]
	v_mul_f64 v[184:185], v[146:147], s[16:17]
	v_add_f64 v[58:59], v[62:63], v[58:59]
	v_add_f64 v[56:57], v[60:61], v[56:57]
	v_fma_f64 v[62:63], v[68:69], s[6:7], -v[188:189]
	v_mul_f64 v[204:205], v[118:119], s[22:23]
	v_mul_f64 v[206:207], v[108:109], s[20:21]
	;; [unrolled: 1-line block ×3, first 2 shown]
	v_fma_f64 v[244:245], v[70:71], s[10:11], v[202:203]
	v_mul_f64 v[246:247], v[110:111], s[54:55]
	v_add_f64 v[228:229], v[2:3], v[228:229]
	v_fma_f64 v[202:203], v[70:71], s[48:49], v[202:203]
	v_add_f64 v[240:241], v[0:1], v[240:241]
	v_fma_f64 v[200:201], v[156:157], s[30:31], -v[200:201]
	v_add_f64 v[198:199], v[2:3], v[198:199]
	s_mov_b32 s51, 0x3fefdd0d
	s_mov_b32 s50, s20
	v_add_f64 v[186:187], v[212:213], v[186:187]
	v_fma_f64 v[212:213], v[72:73], s[30:31], v[176:177]
	v_add_f64 v[168:169], v[168:169], v[172:173]
	v_add_f64 v[190:191], v[214:215], v[190:191]
	v_mul_f64 v[214:215], v[110:111], s[48:49]
	v_fma_f64 v[176:177], v[72:73], s[30:31], -v[176:177]
	v_mul_f64 v[192:193], v[152:153], s[26:27]
	v_add_f64 v[54:55], v[58:59], v[54:55]
	v_add_f64 v[52:53], v[56:57], v[52:53]
	v_fma_f64 v[56:57], v[78:79], s[56:57], v[180:181]
	v_fma_f64 v[58:59], v[160:161], s[56:57], v[222:223]
	v_add_f64 v[62:63], v[62:63], v[170:171]
	v_fma_f64 v[170:171], v[92:93], s[52:53], v[178:179]
	v_fma_f64 v[178:179], v[156:157], s[36:37], v[230:231]
	;; [unrolled: 1-line block ×3, first 2 shown]
	v_fma_f64 v[230:231], v[156:157], s[36:37], -v[230:231]
	v_mul_f64 v[208:209], v[132:133], s[36:37]
	v_mul_f64 v[66:67], v[118:119], s[6:7]
	;; [unrolled: 1-line block ×5, first 2 shown]
	v_add_f64 v[228:229], v[244:245], v[228:229]
	v_add_f64 v[186:187], v[238:239], v[186:187]
	v_fma_f64 v[238:239], v[76:77], s[8:9], v[236:237]
	v_add_f64 v[168:169], v[174:175], v[168:169]
	v_add_f64 v[190:191], v[212:213], v[190:191]
	v_fma_f64 v[212:213], v[68:69], s[16:17], v[214:215]
	v_fma_f64 v[244:245], v[86:87], s[36:37], v[182:183]
	;; [unrolled: 1-line block ×4, first 2 shown]
	v_fma_f64 v[214:215], v[68:69], s[16:17], -v[214:215]
	v_add_f64 v[200:201], v[0:1], v[200:201]
	v_add_f64 v[198:199], v[202:203], v[198:199]
	v_fma_f64 v[202:203], v[70:71], s[24:25], v[64:65]
	v_add_f64 v[58:59], v[2:3], v[58:59]
	v_add_f64 v[62:63], v[176:177], v[62:63]
	v_fma_f64 v[176:177], v[68:69], s[26:27], v[246:247]
	v_add_f64 v[178:179], v[0:1], v[178:179]
	v_fma_f64 v[64:65], v[70:71], s[54:55], v[64:65]
	v_add_f64 v[222:223], v[2:3], v[222:223]
	v_fma_f64 v[246:247], v[68:69], s[26:27], -v[246:247]
	v_add_f64 v[230:231], v[0:1], v[230:231]
	v_fma_f64 v[236:237], v[76:77], s[8:9], -v[236:237]
	v_mul_f64 v[194:195], v[140:141], s[24:25]
	v_add_f64 v[186:187], v[248:249], v[186:187]
	v_mul_f64 v[196:197], v[154:155], s[22:23]
	v_add_f64 v[168:169], v[170:171], v[168:169]
	v_add_f64 v[190:191], v[238:239], v[190:191]
	;; [unrolled: 1-line block ×3, first 2 shown]
	v_fma_f64 v[240:241], v[74:75], s[50:51], v[204:205]
	v_fma_f64 v[170:171], v[72:73], s[22:23], v[206:207]
	;; [unrolled: 1-line block ×3, first 2 shown]
	v_mul_f64 v[210:211], v[134:135], s[6:7]
	v_mul_f64 v[216:217], v[106:107], s[4:5]
	;; [unrolled: 1-line block ×4, first 2 shown]
	v_fma_f64 v[182:183], v[86:87], s[36:37], -v[182:183]
	v_fma_f64 v[248:249], v[90:91], s[54:55], v[192:193]
	v_fma_f64 v[184:185], v[84:85], s[48:49], v[184:185]
	v_fma_f64 v[206:207], v[72:73], s[22:23], -v[206:207]
	v_add_f64 v[200:201], v[214:215], v[200:201]
	v_fma_f64 v[214:215], v[74:75], s[42:43], v[66:67]
	v_add_f64 v[58:59], v[202:203], v[58:59]
	v_fma_f64 v[202:203], v[72:73], s[6:7], v[232:233]
	;; [unrolled: 2-line block ×4, first 2 shown]
	v_add_f64 v[64:65], v[64:65], v[222:223]
	v_add_f64 v[190:191], v[244:245], v[190:191]
	v_fma_f64 v[222:223], v[72:73], s[6:7], -v[232:233]
	v_add_f64 v[228:229], v[240:241], v[228:229]
	v_fma_f64 v[240:241], v[92:93], s[34:35], v[208:209]
	v_fma_f64 v[208:209], v[92:93], s[56:57], v[208:209]
	;; [unrolled: 1-line block ×3, first 2 shown]
	v_add_f64 v[230:231], v[246:247], v[230:231]
	v_add_f64 v[170:171], v[170:171], v[212:213]
	;; [unrolled: 1-line block ×5, first 2 shown]
	v_mul_f64 v[218:219], v[146:147], s[38:39]
	v_mul_f64 v[220:221], v[126:127], s[40:41]
	;; [unrolled: 1-line block ×4, first 2 shown]
	v_fma_f64 v[238:239], v[96:97], s[26:27], v[194:195]
	v_fma_f64 v[244:245], v[94:95], s[20:21], v[196:197]
	;; [unrolled: 1-line block ×3, first 2 shown]
	v_fma_f64 v[188:189], v[76:77], s[36:37], -v[188:189]
	v_add_f64 v[56:57], v[174:175], v[56:57]
	v_add_f64 v[198:199], v[206:207], v[200:201]
	v_fma_f64 v[200:201], v[92:93], s[46:47], v[224:225]
	v_add_f64 v[174:175], v[186:187], v[190:191]
	v_fma_f64 v[186:187], v[86:87], s[6:7], v[216:217]
	v_fma_f64 v[204:205], v[76:77], s[30:31], v[234:235]
	v_add_f64 v[190:191], v[240:241], v[228:229]
	v_fma_f64 v[206:207], v[92:93], s[28:29], v[224:225]
	v_add_f64 v[58:59], v[214:215], v[58:59]
	v_add_f64 v[176:177], v[202:203], v[176:177]
	v_fma_f64 v[202:203], v[76:77], s[30:31], -v[234:235]
	v_add_f64 v[64:65], v[66:67], v[64:65]
	v_add_f64 v[66:67], v[54:55], v[50:51]
	;; [unrolled: 1-line block ×8, first 2 shown]
	v_fma_f64 v[170:171], v[78:79], s[4:5], v[210:211]
	v_fma_f64 v[192:193], v[90:91], s[24:25], v[192:193]
	v_fma_f64 v[212:213], v[88:89], s[16:17], -v[242:243]
	v_add_f64 v[54:55], v[248:249], v[56:57]
	v_add_f64 v[180:181], v[188:189], v[198:199]
	v_fma_f64 v[182:183], v[86:87], s[6:7], -v[216:217]
	v_add_f64 v[56:57], v[238:239], v[174:175]
	v_fma_f64 v[174:175], v[96:97], s[26:27], -v[194:195]
	v_mul_f64 v[184:185], v[146:147], s[8:9]
	v_add_f64 v[178:179], v[178:179], v[190:191]
	v_fma_f64 v[188:189], v[78:79], s[20:21], v[226:227]
	v_add_f64 v[58:59], v[200:201], v[58:59]
	v_add_f64 v[176:177], v[204:205], v[176:177]
	v_fma_f64 v[190:191], v[86:87], s[22:23], v[172:173]
	v_mul_f64 v[194:195], v[126:127], s[18:19]
	v_fma_f64 v[198:199], v[84:85], s[44:45], v[218:219]
	v_add_f64 v[64:65], v[206:207], v[64:65]
	v_fma_f64 v[200:201], v[78:79], s[50:51], v[226:227]
	v_mul_f64 v[204:205], v[152:153], s[8:9]
	v_add_f64 v[48:49], v[202:203], v[48:49]
	v_fma_f64 v[172:173], v[86:87], s[22:23], -v[172:173]
	v_add_f64 v[186:187], v[186:187], v[50:51]
	v_fma_f64 v[202:203], v[88:89], s[38:39], v[220:221]
	v_mul_f64 v[206:207], v[140:141], s[52:53]
	v_mul_f64 v[60:61], v[150:151], s[50:51]
	v_add_f64 v[50:51], v[244:245], v[54:55]
	v_add_f64 v[54:55], v[170:171], v[168:169]
	v_fma_f64 v[168:169], v[84:85], s[40:41], v[218:219]
	v_add_f64 v[52:53], v[212:213], v[52:53]
	v_add_f64 v[62:63], v[192:193], v[62:63]
	v_fma_f64 v[170:171], v[94:95], s[50:51], v[196:197]
	v_add_f64 v[180:181], v[182:183], v[180:181]
	v_fma_f64 v[182:183], v[88:89], s[38:39], -v[220:221]
	v_fma_f64 v[192:193], v[84:85], s[52:53], v[184:185]
	v_add_f64 v[58:59], v[188:189], v[58:59]
	v_mul_f64 v[188:189], v[152:153], s[38:39]
	v_add_f64 v[176:177], v[190:191], v[176:177]
	v_fma_f64 v[190:191], v[88:89], s[8:9], v[194:195]
	v_add_f64 v[178:179], v[198:199], v[178:179]
	v_mul_f64 v[196:197], v[140:141], s[40:41]
	v_add_f64 v[64:65], v[200:201], v[64:65]
	v_fma_f64 v[184:185], v[84:85], s[18:19], v[184:185]
	v_fma_f64 v[198:199], v[90:91], s[18:19], v[204:205]
	v_add_f64 v[48:49], v[172:173], v[48:49]
	v_fma_f64 v[172:173], v[88:89], s[8:9], -v[194:195]
	v_add_f64 v[186:187], v[202:203], v[186:187]
	v_fma_f64 v[194:195], v[96:97], s[8:9], v[206:207]
	v_mul_f64 v[200:201], v[154:155], s[26:27]
	v_mul_f64 v[202:203], v[166:167], s[26:27]
	;; [unrolled: 1-line block ×3, first 2 shown]
	v_add_f64 v[54:55], v[168:169], v[54:55]
	v_fma_f64 v[168:169], v[90:91], s[52:53], v[204:205]
	v_mul_f64 v[204:205], v[164:165], s[24:25]
	v_fma_f64 v[214:215], v[100:101], s[22:23], v[60:61]
	v_add_f64 v[52:53], v[174:175], v[52:53]
	v_fma_f64 v[174:175], v[96:97], s[8:9], -v[206:207]
	v_add_f64 v[180:181], v[182:183], v[180:181]
	v_add_f64 v[58:59], v[192:193], v[58:59]
	v_fma_f64 v[182:183], v[90:91], s[44:45], v[188:189]
	v_add_f64 v[176:177], v[190:191], v[176:177]
	v_mul_f64 v[190:191], v[154:155], s[16:17]
	v_fma_f64 v[192:193], v[96:97], s[38:39], v[196:197]
	v_mul_f64 v[206:207], v[150:151], s[48:49]
	v_add_f64 v[64:65], v[184:185], v[64:65]
	v_fma_f64 v[184:185], v[90:91], s[40:41], v[188:189]
	v_add_f64 v[178:179], v[198:199], v[178:179]
	v_fma_f64 v[188:189], v[96:97], s[38:39], -v[196:197]
	v_mul_f64 v[198:199], v[112:113], s[30:31]
	v_add_f64 v[186:187], v[194:195], v[186:187]
	v_fma_f64 v[194:195], v[94:95], s[54:55], v[200:201]
	v_fma_f64 v[196:197], v[160:161], s[54:55], v[202:203]
	;; [unrolled: 1-line block ×4, first 2 shown]
	v_add_f64 v[168:169], v[168:169], v[54:55]
	v_add_f64 v[54:55], v[170:171], v[62:63]
	v_fma_f64 v[170:171], v[156:157], s[26:27], v[204:205]
	v_mul_f64 v[212:213], v[110:111], s[46:47]
	v_fma_f64 v[60:61], v[100:101], s[22:23], -v[60:61]
	v_add_f64 v[172:173], v[172:173], v[48:49]
	v_add_f64 v[48:49], v[214:215], v[56:57]
	v_fma_f64 v[208:209], v[100:101], s[26:27], -v[208:209]
	v_add_f64 v[174:175], v[174:175], v[180:181]
	v_add_f64 v[180:181], v[182:183], v[58:59]
	v_fma_f64 v[182:183], v[94:95], s[10:11], v[190:191]
	v_add_f64 v[176:177], v[192:193], v[176:177]
	v_fma_f64 v[192:193], v[100:101], s[16:17], v[206:207]
	;; [unrolled: 2-line block ×3, first 2 shown]
	v_fma_f64 v[190:191], v[100:101], s[16:17], -v[206:207]
	v_mul_f64 v[206:207], v[108:109], s[52:53]
	v_mul_f64 v[216:217], v[118:119], s[26:27]
	v_add_f64 v[58:59], v[194:195], v[178:179]
	v_add_f64 v[178:179], v[2:3], v[196:197]
	v_fma_f64 v[194:195], v[70:71], s[28:29], v[198:199]
	v_mul_f64 v[196:197], v[118:119], s[8:9]
	v_add_f64 v[56:57], v[210:211], v[186:187]
	v_add_f64 v[62:63], v[200:201], v[168:169]
	;; [unrolled: 1-line block ×5, first 2 shown]
	v_fma_f64 v[200:201], v[68:69], s[30:31], v[212:213]
	v_add_f64 v[52:53], v[60:61], v[52:53]
	v_add_f64 v[172:173], v[188:189], v[172:173]
	v_mul_f64 v[188:189], v[166:167], s[22:23]
	v_add_f64 v[60:61], v[208:209], v[174:175]
	v_fma_f64 v[174:175], v[160:161], s[24:25], v[202:203]
	v_add_f64 v[46:47], v[182:183], v[180:181]
	v_mul_f64 v[180:181], v[166:167], s[16:17]
	v_add_f64 v[44:45], v[192:193], v[176:177]
	v_mul_f64 v[176:177], v[166:167], s[8:9]
	v_mul_f64 v[182:183], v[164:165], s[20:21]
	;; [unrolled: 1-line block ×3, first 2 shown]
	v_add_f64 v[66:67], v[184:185], v[64:65]
	v_mul_f64 v[184:185], v[164:165], s[10:11]
	v_mul_f64 v[164:165], v[164:165], s[18:19]
	v_add_f64 v[178:179], v[194:195], v[178:179]
	v_fma_f64 v[192:193], v[74:75], s[18:19], v[196:197]
	v_mul_f64 v[194:195], v[132:133], s[16:17]
	v_fma_f64 v[198:199], v[70:71], s[46:47], v[198:199]
	v_add_f64 v[42:43], v[168:169], v[42:43]
	v_add_f64 v[40:41], v[186:187], v[40:41]
	v_mul_f64 v[186:187], v[114:115], s[10:11]
	v_add_f64 v[168:169], v[200:201], v[170:171]
	v_fma_f64 v[170:171], v[72:73], s[8:9], v[206:207]
	v_add_f64 v[64:65], v[190:191], v[172:173]
	v_fma_f64 v[172:173], v[160:161], s[50:51], v[188:189]
	v_fma_f64 v[190:191], v[156:157], s[26:27], -v[204:205]
	v_fma_f64 v[188:189], v[160:161], s[20:21], v[188:189]
	v_add_f64 v[174:175], v[2:3], v[174:175]
	v_fma_f64 v[200:201], v[160:161], s[48:49], v[180:181]
	v_mul_f64 v[202:203], v[156:157], s[6:7]
	v_fma_f64 v[180:181], v[160:161], s[10:11], v[180:181]
	v_fma_f64 v[204:205], v[156:157], s[22:23], v[182:183]
	v_fma_f64 v[208:209], v[160:161], s[52:53], v[176:177]
	v_fma_f64 v[160:161], v[160:161], s[18:19], v[176:177]
	v_mul_f64 v[176:177], v[112:113], s[38:39]
	v_add_f64 v[162:163], v[162:163], v[166:167]
	v_fma_f64 v[166:167], v[156:157], s[22:23], -v[182:183]
	v_fma_f64 v[182:183], v[156:157], s[16:17], v[184:185]
	v_add_f64 v[178:179], v[192:193], v[178:179]
	v_fma_f64 v[192:193], v[92:93], s[48:49], v[194:195]
	v_mul_f64 v[210:211], v[134:135], s[38:39]
	v_fma_f64 v[184:185], v[156:157], s[16:17], -v[184:185]
	v_fma_f64 v[214:215], v[156:157], s[8:9], v[164:165]
	v_fma_f64 v[156:157], v[156:157], s[8:9], -v[164:165]
	v_add_f64 v[164:165], v[170:171], v[168:169]
	v_fma_f64 v[168:169], v[76:77], s[16:17], v[186:187]
	v_mul_f64 v[170:171], v[106:107], s[40:41]
	v_add_f64 v[190:191], v[0:1], v[190:191]
	v_fma_f64 v[212:213], v[68:69], s[30:31], -v[212:213]
	v_add_f64 v[174:175], v[198:199], v[174:175]
	v_fma_f64 v[196:197], v[74:75], s[52:53], v[196:197]
	v_add_f64 v[158:159], v[202:203], -v[158:159]
	v_add_f64 v[172:173], v[2:3], v[172:173]
	v_add_f64 v[198:199], v[0:1], v[204:205]
	v_mul_f64 v[202:203], v[110:111], s[40:41]
	v_mul_f64 v[218:219], v[126:127], s[50:51]
	v_fma_f64 v[204:205], v[70:71], s[40:41], v[176:177]
	v_fma_f64 v[176:177], v[70:71], s[44:45], v[176:177]
	v_add_f64 v[188:189], v[2:3], v[188:189]
	v_add_f64 v[166:167], v[0:1], v[166:167]
	;; [unrolled: 1-line block ×4, first 2 shown]
	v_fma_f64 v[192:193], v[78:79], s[44:45], v[210:211]
	v_add_f64 v[180:181], v[2:3], v[180:181]
	v_fma_f64 v[194:195], v[92:93], s[10:11], v[194:195]
	v_mul_f64 v[220:221], v[108:109], s[54:55]
	v_mul_f64 v[222:223], v[132:133], s[6:7]
	v_add_f64 v[164:165], v[168:169], v[164:165]
	v_fma_f64 v[168:169], v[86:87], s[38:39], v[170:171]
	v_add_f64 v[160:161], v[2:3], v[160:161]
	v_add_f64 v[190:191], v[212:213], v[190:191]
	v_mul_f64 v[212:213], v[146:147], s[22:23]
	v_add_f64 v[174:175], v[196:197], v[174:175]
	v_add_f64 v[196:197], v[2:3], v[208:209]
	;; [unrolled: 1-line block ×4, first 2 shown]
	v_fma_f64 v[214:215], v[68:69], s[38:39], v[202:203]
	v_fma_f64 v[202:203], v[68:69], s[38:39], -v[202:203]
	v_fma_f64 v[206:207], v[72:73], s[8:9], -v[206:207]
	v_add_f64 v[172:173], v[176:177], v[172:173]
	v_fma_f64 v[176:177], v[74:75], s[24:25], v[216:217]
	v_add_f64 v[38:39], v[42:43], v[38:39]
	v_add_f64 v[36:37], v[40:41], v[36:37]
	;; [unrolled: 1-line block ×4, first 2 shown]
	v_mul_f64 v[178:179], v[112:113], s[36:37]
	v_add_f64 v[188:189], v[204:205], v[188:189]
	v_fma_f64 v[204:205], v[74:75], s[54:55], v[216:217]
	v_fma_f64 v[186:187], v[76:77], s[16:17], -v[186:187]
	v_mul_f64 v[216:217], v[140:141], s[4:5]
	v_add_f64 v[164:165], v[168:169], v[164:165]
	v_fma_f64 v[168:169], v[88:89], s[22:23], v[218:219]
	v_add_f64 v[184:185], v[0:1], v[184:185]
	v_fma_f64 v[192:193], v[84:85], s[20:21], v[212:213]
	;; [unrolled: 2-line block ×3, first 2 shown]
	v_mul_f64 v[210:211], v[114:115], s[42:43]
	v_add_f64 v[156:157], v[0:1], v[156:157]
	v_add_f64 v[42:43], v[214:215], v[198:199]
	v_fma_f64 v[198:199], v[72:73], s[26:27], v[220:221]
	v_mul_f64 v[214:215], v[134:135], s[16:17]
	v_add_f64 v[166:167], v[202:203], v[166:167]
	v_fma_f64 v[202:203], v[72:73], s[26:27], -v[220:221]
	v_mul_f64 v[220:221], v[118:119], s[38:39]
	v_add_f64 v[172:173], v[176:177], v[172:173]
	v_fma_f64 v[176:177], v[92:93], s[4:5], v[222:223]
	v_add_f64 v[190:191], v[206:207], v[190:191]
	v_fma_f64 v[40:41], v[70:71], s[56:57], v[178:179]
	v_fma_f64 v[178:179], v[70:71], s[34:35], v[178:179]
	v_mul_f64 v[206:207], v[152:153], s[6:7]
	v_add_f64 v[34:35], v[38:39], v[34:35]
	v_add_f64 v[32:33], v[36:37], v[32:33]
	;; [unrolled: 1-line block ×4, first 2 shown]
	v_mul_f64 v[168:169], v[110:111], s[34:35]
	v_add_f64 v[162:163], v[192:193], v[162:163]
	v_fma_f64 v[192:193], v[84:85], s[50:51], v[212:213]
	v_add_f64 v[174:175], v[194:195], v[174:175]
	v_fma_f64 v[194:195], v[76:77], s[6:7], v[210:211]
	v_fma_f64 v[204:205], v[92:93], s[42:43], v[222:223]
	v_mul_f64 v[212:213], v[146:147], s[30:31]
	v_add_f64 v[42:43], v[198:199], v[42:43]
	v_mul_f64 v[198:199], v[106:107], s[10:11]
	v_fma_f64 v[222:223], v[96:97], s[6:7], v[216:217]
	v_add_f64 v[166:167], v[202:203], v[166:167]
	v_fma_f64 v[202:203], v[76:77], s[6:7], -v[210:211]
	v_mul_f64 v[210:211], v[132:133], s[26:27]
	v_add_f64 v[38:39], v[176:177], v[172:173]
	v_fma_f64 v[172:173], v[78:79], s[48:49], v[214:215]
	v_fma_f64 v[176:177], v[74:75], s[44:45], v[220:221]
	v_add_f64 v[178:179], v[178:179], v[180:181]
	v_mul_f64 v[180:181], v[108:109], s[44:45]
	v_add_f64 v[186:187], v[186:187], v[190:191]
	v_fma_f64 v[190:191], v[90:91], s[42:43], v[206:207]
	v_add_f64 v[30:31], v[34:35], v[30:31]
	v_add_f64 v[28:29], v[32:33], v[28:29]
	v_fma_f64 v[36:37], v[68:69], s[36:37], v[168:169]
	v_fma_f64 v[168:169], v[68:69], s[36:37], -v[168:169]
	v_add_f64 v[0:1], v[0:1], v[158:159]
	v_add_f64 v[174:175], v[192:193], v[174:175]
	v_mul_f64 v[110:111], v[110:111], s[20:21]
	v_add_f64 v[188:189], v[204:205], v[188:189]
	v_fma_f64 v[204:205], v[78:79], s[10:11], v[214:215]
	v_add_f64 v[42:43], v[194:195], v[42:43]
	v_fma_f64 v[192:193], v[86:87], s[16:17], v[198:199]
	v_fma_f64 v[198:199], v[86:87], s[16:17], -v[198:199]
	v_mul_f64 v[194:195], v[126:127], s[28:29]
	v_add_f64 v[166:167], v[202:203], v[166:167]
	v_mul_f64 v[202:203], v[134:135], s[8:9]
	v_mul_f64 v[214:215], v[152:153], s[36:37]
	v_add_f64 v[38:39], v[172:173], v[38:39]
	v_mul_f64 v[172:173], v[114:115], s[54:55]
	v_add_f64 v[34:35], v[176:177], v[178:179]
	v_fma_f64 v[176:177], v[92:93], s[54:55], v[210:211]
	v_fma_f64 v[178:179], v[84:85], s[46:47], v[212:213]
	v_add_f64 v[158:159], v[190:191], v[162:163]
	v_add_f64 v[162:163], v[222:223], v[164:165]
	;; [unrolled: 1-line block ×4, first 2 shown]
	v_fma_f64 v[36:37], v[72:73], s[38:39], v[180:181]
	v_add_f64 v[168:169], v[168:169], v[184:185]
	v_fma_f64 v[180:181], v[72:73], s[38:39], -v[180:181]
	v_add_f64 v[24:25], v[28:29], v[24:25]
	v_mul_f64 v[28:29], v[112:113], s[8:9]
	v_mul_f64 v[164:165], v[68:69], s[8:9]
	v_add_f64 v[188:189], v[204:205], v[188:189]
	v_fma_f64 v[204:205], v[84:85], s[28:29], v[212:213]
	v_mul_f64 v[108:109], v[108:109], s[34:35]
	v_add_f64 v[40:41], v[40:41], v[200:201]
	v_add_f64 v[166:167], v[198:199], v[166:167]
	v_mul_f64 v[198:199], v[112:113], s[22:23]
	v_fma_f64 v[200:201], v[74:75], s[40:41], v[220:221]
	v_fma_f64 v[206:207], v[90:91], s[4:5], v[206:207]
	v_add_f64 v[42:43], v[192:193], v[42:43]
	v_fma_f64 v[182:183], v[88:89], s[30:31], v[194:195]
	v_add_f64 v[34:35], v[176:177], v[34:35]
	v_add_f64 v[38:39], v[178:179], v[38:39]
	v_mul_f64 v[178:179], v[118:119], s[36:37]
	v_mul_f64 v[118:119], v[118:119], s[16:17]
	v_add_f64 v[22:23], v[26:27], v[22:23]
	v_mul_f64 v[26:27], v[72:73], s[16:17]
	v_add_f64 v[30:31], v[36:37], v[32:33]
	v_fma_f64 v[32:33], v[76:77], s[26:27], v[172:173]
	v_fma_f64 v[36:37], v[78:79], s[52:53], v[202:203]
	v_add_f64 v[168:169], v[180:181], v[168:169]
	v_fma_f64 v[172:173], v[76:77], s[26:27], -v[172:173]
	v_fma_f64 v[180:181], v[68:69], s[22:23], -v[110:111]
	v_add_f64 v[20:21], v[24:25], v[20:21]
	v_add_f64 v[24:25], v[102:103], v[28:29]
	;; [unrolled: 1-line block ×3, first 2 shown]
	v_fma_f64 v[184:185], v[90:91], s[56:57], v[214:215]
	v_fma_f64 v[68:69], v[68:69], s[22:23], v[110:111]
	;; [unrolled: 1-line block ×4, first 2 shown]
	v_mul_f64 v[110:111], v[132:133], s[38:39]
	v_mul_f64 v[114:115], v[114:115], s[40:41]
	v_add_f64 v[40:41], v[200:201], v[40:41]
	v_fma_f64 v[200:201], v[92:93], s[24:25], v[210:211]
	v_add_f64 v[112:113], v[206:207], v[174:175]
	v_add_f64 v[42:43], v[182:183], v[42:43]
	;; [unrolled: 1-line block ×3, first 2 shown]
	v_fma_f64 v[192:193], v[88:89], s[30:31], -v[194:195]
	v_add_f64 v[26:27], v[26:27], -v[104:105]
	v_fma_f64 v[194:195], v[78:79], s[18:19], v[202:203]
	v_add_f64 v[28:29], v[32:33], v[30:31]
	v_add_f64 v[32:33], v[36:37], v[34:35]
	v_add_f64 v[36:37], v[164:165], -v[98:99]
	v_mul_f64 v[30:31], v[76:77], s[22:23]
	v_mul_f64 v[34:35], v[132:133], s[22:23]
	v_add_f64 v[164:165], v[172:173], v[168:169]
	v_fma_f64 v[172:173], v[74:75], s[34:35], v[178:179]
	v_add_f64 v[156:157], v[180:181], v[156:157]
	v_add_f64 v[2:3], v[24:25], v[2:3]
	v_mul_f64 v[24:25], v[150:151], s[34:35]
	v_add_f64 v[160:161], v[176:177], v[160:161]
	v_fma_f64 v[176:177], v[72:73], s[36:37], -v[108:109]
	v_add_f64 v[174:175], v[184:185], v[188:189]
	v_mul_f64 v[98:99], v[86:87], s[26:27]
	v_fma_f64 v[74:75], v[74:75], s[56:57], v[178:179]
	v_add_f64 v[70:71], v[70:71], v[196:197]
	v_fma_f64 v[72:73], v[72:73], s[36:37], v[108:109]
	v_add_f64 v[68:69], v[68:69], v[208:209]
	v_fma_f64 v[182:183], v[92:93], s[44:45], v[110:111]
	v_fma_f64 v[92:93], v[92:93], s[40:41], v[110:111]
	v_add_f64 v[40:41], v[200:201], v[40:41]
	v_mul_f64 v[102:103], v[134:135], s[26:27]
	v_mul_f64 v[120:121], v[146:147], s[36:37]
	;; [unrolled: 1-line block ×3, first 2 shown]
	v_add_f64 v[0:1], v[36:37], v[0:1]
	v_add_f64 v[18:19], v[22:23], v[18:19]
	;; [unrolled: 1-line block ×3, first 2 shown]
	v_fma_f64 v[124:125], v[76:77], s[38:39], -v[114:115]
	v_fma_f64 v[76:77], v[76:77], s[38:39], v[114:115]
	v_add_f64 v[16:17], v[20:21], v[16:17]
	v_add_f64 v[2:3], v[118:119], v[2:3]
	v_fma_f64 v[118:119], v[100:101], s[36:37], v[24:25]
	v_add_f64 v[160:161], v[172:173], v[160:161]
	v_add_f64 v[156:157], v[176:177], v[156:157]
	v_fma_f64 v[184:185], v[100:101], s[36:37], -v[24:25]
	v_add_f64 v[24:25], v[30:31], -v[116:117]
	v_add_f64 v[98:99], v[98:99], -v[122:123]
	v_add_f64 v[70:71], v[74:75], v[70:71]
	v_mul_f64 v[74:75], v[146:147], s[6:7]
	v_add_f64 v[68:69], v[72:73], v[68:69]
	v_mul_f64 v[108:109], v[140:141], s[56:57]
	v_mul_f64 v[168:169], v[88:89], s[36:37]
	v_add_f64 v[40:41], v[194:195], v[40:41]
	v_mul_f64 v[146:147], v[146:147], s[26:27]
	v_add_f64 v[120:121], v[136:137], v[120:121]
	v_add_f64 v[102:103], v[128:129], v[102:103]
	;; [unrolled: 1-line block ×3, first 2 shown]
	v_mul_f64 v[26:27], v[106:107], s[52:53]
	v_mul_f64 v[106:107], v[106:107], s[46:47]
	v_add_f64 v[14:15], v[18:19], v[14:15]
	v_fma_f64 v[170:171], v[86:87], s[38:39], -v[170:171]
	v_add_f64 v[12:13], v[16:17], v[12:13]
	v_add_f64 v[2:3], v[34:35], v[2:3]
	v_mul_f64 v[34:35], v[152:153], s[22:23]
	v_add_f64 v[92:93], v[92:93], v[160:161]
	v_mul_f64 v[160:161], v[126:127], s[4:5]
	;; [unrolled: 2-line block ×3, first 2 shown]
	v_fma_f64 v[156:157], v[78:79], s[46:47], v[134:135]
	v_fma_f64 v[78:79], v[78:79], s[28:29], v[134:135]
	;; [unrolled: 1-line block ×3, first 2 shown]
	v_add_f64 v[68:69], v[76:77], v[68:69]
	v_fma_f64 v[114:115], v[96:97], s[36:37], v[108:109]
	v_add_f64 v[70:71], v[182:183], v[70:71]
	v_mul_f64 v[178:179], v[96:97], s[30:31]
	v_mul_f64 v[36:37], v[152:153], s[30:31]
	;; [unrolled: 1-line block ×4, first 2 shown]
	v_add_f64 v[0:1], v[24:25], v[0:1]
	v_fma_f64 v[122:123], v[86:87], s[8:9], -v[26:27]
	v_fma_f64 v[24:25], v[86:87], s[30:31], -v[106:107]
	v_add_f64 v[10:11], v[14:15], v[10:11]
	v_fma_f64 v[26:27], v[86:87], s[8:9], v[26:27]
	v_add_f64 v[14:15], v[12:13], v[8:9]
	v_fma_f64 v[86:87], v[86:87], s[30:31], v[106:107]
	v_add_f64 v[2:3], v[102:103], v[2:3]
	v_add_f64 v[102:103], v[168:169], -v[130:131]
	v_fma_f64 v[76:77], v[88:89], s[6:7], -v[160:161]
	v_mul_f64 v[140:141], v[140:141], s[48:49]
	v_fma_f64 v[136:137], v[88:89], s[26:27], -v[126:127]
	v_add_f64 v[92:93], v[156:157], v[92:93]
	v_fma_f64 v[156:157], v[84:85], s[54:55], v[146:147]
	v_fma_f64 v[74:75], v[84:85], s[4:5], v[74:75]
	v_add_f64 v[170:171], v[170:171], v[186:187]
	v_add_f64 v[42:43], v[114:115], v[42:43]
	v_fma_f64 v[186:187], v[88:89], s[22:23], -v[218:219]
	v_fma_f64 v[84:85], v[84:85], s[24:25], v[146:147]
	v_add_f64 v[70:71], v[78:79], v[70:71]
	v_mul_f64 v[180:181], v[100:101], s[38:39]
	v_mul_f64 v[110:111], v[154:155], s[38:39]
	v_add_f64 v[0:1], v[98:99], v[0:1]
	v_add_f64 v[22:23], v[122:123], v[164:165]
	;; [unrolled: 1-line block ×3, first 2 shown]
	v_fma_f64 v[24:25], v[88:89], s[6:7], v[160:161]
	v_add_f64 v[26:27], v[26:27], v[28:29]
	v_fma_f64 v[88:89], v[88:89], s[26:27], v[126:127]
	v_add_f64 v[68:69], v[86:87], v[68:69]
	;; [unrolled: 2-line block ×3, first 2 shown]
	v_add_f64 v[2:3], v[120:121], v[2:3]
	v_add_f64 v[120:121], v[178:179], -v[142:143]
	v_mul_f64 v[98:99], v[154:155], s[6:7]
	v_mul_f64 v[78:79], v[150:151], s[42:43]
	v_add_f64 v[92:93], v[156:157], v[92:93]
	v_fma_f64 v[122:123], v[96:97], s[16:17], -v[140:141]
	v_mul_f64 v[128:129], v[154:155], s[30:31]
	v_mul_f64 v[106:107], v[150:151], s[28:29]
	v_fma_f64 v[28:29], v[90:91], s[20:21], v[34:35]
	v_add_f64 v[32:33], v[74:75], v[32:33]
	v_fma_f64 v[74:75], v[96:97], s[22:23], -v[182:183]
	v_add_f64 v[166:167], v[192:193], v[166:167]
	v_mul_f64 v[104:105], v[154:155], s[8:9]
	v_add_f64 v[0:1], v[102:103], v[0:1]
	v_add_f64 v[18:19], v[76:77], v[22:23]
	;; [unrolled: 1-line block ×3, first 2 shown]
	v_fma_f64 v[20:21], v[90:91], s[50:51], v[34:35]
	v_add_f64 v[22:23], v[134:135], v[40:41]
	v_mul_f64 v[172:173], v[150:151], s[52:53]
	v_fma_f64 v[108:109], v[96:97], s[36:37], -v[108:109]
	v_add_f64 v[170:171], v[186:187], v[170:171]
	v_fma_f64 v[186:187], v[96:97], s[6:7], -v[216:217]
	v_mul_f64 v[132:133], v[154:155], s[36:37]
	v_fma_f64 v[116:117], v[90:91], s[34:35], v[214:215]
	v_fma_f64 v[34:35], v[96:97], s[22:23], v[182:183]
	v_add_f64 v[24:25], v[24:25], v[26:27]
	v_fma_f64 v[40:41], v[90:91], s[10:11], v[152:153]
	v_add_f64 v[70:71], v[84:85], v[70:71]
	;; [unrolled: 2-line block ×3, first 2 shown]
	v_add_f64 v[86:87], v[86:87], v[92:93]
	v_add_f64 v[90:91], v[144:145], v[110:111]
	;; [unrolled: 1-line block ×3, first 2 shown]
	v_add_f64 v[92:93], v[180:181], -v[138:139]
	v_fma_f64 v[84:85], v[94:95], s[42:43], v[98:99]
	v_add_f64 v[0:1], v[120:121], v[0:1]
	v_fma_f64 v[88:89], v[100:101], s[6:7], -v[78:79]
	v_add_f64 v[96:97], v[122:123], v[16:17]
	v_fma_f64 v[26:27], v[94:95], s[28:29], v[128:129]
	v_add_f64 v[114:115], v[20:21], v[22:23]
	v_add_f64 v[22:23], v[14:15], v[4:5]
	buffer_load_dword v4, off, s[60:63], 0  ; 4-byte Folded Reload
	v_add_f64 v[28:29], v[28:29], v[32:33]
	v_fma_f64 v[32:33], v[100:101], s[30:31], -v[106:107]
	v_add_f64 v[74:75], v[74:75], v[18:19]
	v_fma_f64 v[30:31], v[94:95], s[18:19], v[104:105]
	v_fma_f64 v[104:105], v[94:95], s[52:53], v[104:105]
	v_fma_f64 v[72:73], v[100:101], s[8:9], -v[172:173]
	v_add_f64 v[102:103], v[108:109], v[166:167]
	v_add_f64 v[170:171], v[186:187], v[170:171]
	v_fma_f64 v[176:177], v[94:95], s[56:57], v[132:133]
	v_fma_f64 v[132:133], v[94:95], s[34:35], v[132:133]
	v_add_f64 v[38:39], v[116:117], v[38:39]
	v_fma_f64 v[108:109], v[100:101], s[8:9], v[172:173]
	v_fma_f64 v[110:111], v[94:95], s[46:47], v[128:129]
	;; [unrolled: 1-line block ×3, first 2 shown]
	v_add_f64 v[34:35], v[34:35], v[24:25]
	v_fma_f64 v[94:95], v[94:95], s[4:5], v[98:99]
	v_add_f64 v[40:41], v[40:41], v[70:71]
	v_fma_f64 v[70:71], v[100:101], s[6:7], v[78:79]
	v_add_f64 v[68:69], v[76:77], v[68:69]
	v_add_f64 v[24:25], v[10:11], v[6:7]
	;; [unrolled: 1-line block ×14, first 2 shown]
	v_mov_b32_e32 v5, 4
	v_add_f64 v[32:33], v[30:31], v[38:39]
	v_add_f64 v[30:31], v[108:109], v[42:43]
	v_add_f64 v[36:37], v[110:111], v[114:115]
	v_add_f64 v[34:35], v[106:107], v[34:35]
	v_add_f64 v[40:41], v[94:95], v[40:41]
	v_add_f64 v[38:39], v[70:71], v[68:69]
	s_waitcnt vmcnt(0)
	v_mul_lo_u16 v4, v4, 17
	v_lshlrev_b32_sdwa v4, v5, v4 dst_sel:DWORD dst_unused:UNUSED_PAD src0_sel:DWORD src1_sel:WORD_0
	ds_write_b128 v4, v[22:25]
	ds_write_b128 v4, v[18:21] offset:16
	ds_write_b128 v4, v[14:17] offset:32
	;; [unrolled: 1-line block ×16, first 2 shown]
.LBB0_7:
	s_or_b32 exec_lo, exec_lo, s33
	buffer_load_dword v148, off, s[60:63], 0 ; 4-byte Folded Reload
	v_mov_b32_e32 v114, 4
	v_mov_b32_e32 v13, 0xf0f1
	s_load_dwordx4 s[4:7], s[0:1], 0x0
	s_waitcnt vmcnt(0) lgkmcnt(0)
	s_barrier
	buffer_gl0_inv
	v_mov_b32_e32 v130, 34
	v_add_nc_u16 v0, v148, 51
	v_add_nc_u16 v1, v148, 0x66
	v_and_b32_e32 v4, 0xff, v148
	v_add_nc_u16 v8, v148, 0xcc
	v_add_nc_u16 v10, v148, 0x132
	v_and_b32_e32 v2, 0xff, v0
	v_and_b32_e32 v3, 0xff, v1
	v_add_nc_u16 v9, v148, 0xff
	v_and_b32_e32 v12, 0xff, v8
	v_mul_u32_u24_sdwa v14, v10, v13 dst_sel:DWORD dst_unused:UNUSED_PAD src0_sel:WORD_0 src1_sel:DWORD
	v_mul_lo_u16 v5, 0xf1, v2
	v_mul_lo_u16 v6, 0xf1, v3
	;; [unrolled: 1-line block ×3, first 2 shown]
	v_add_nc_u16 v2, v148, 0x99
	v_lshrrev_b32_e32 v120, 20, v14
	v_lshrrev_b16 v39, 12, v5
	v_lshrrev_b16 v115, 12, v6
	;; [unrolled: 1-line block ×3, first 2 shown]
	v_and_b32_e32 v4, 0xff, v2
	v_mul_lo_u16 v16, v120, 17
	v_mul_lo_u16 v3, v39, 17
	;; [unrolled: 1-line block ×4, first 2 shown]
	v_lshlrev_b32_sdwa v252, v114, v148 dst_sel:DWORD dst_unused:UNUSED_PAD src0_sel:DWORD src1_sel:WORD_0
	v_sub_nc_u16 v124, v10, v16
	v_sub_nc_u16 v3, v0, v3
	v_sub_nc_u16 v15, v1, v7
	v_sub_nc_u16 v117, v148, v11
	v_mul_lo_u16 v7, 0xf1, v4
	v_lshlrev_b32_sdwa v16, v114, v124 dst_sel:DWORD dst_unused:UNUSED_PAD src0_sel:DWORD src1_sel:WORD_0
	v_and_b32_e32 v118, 0xff, v3
	v_mul_lo_u16 v3, 0xf1, v12
	v_lshlrev_b32_sdwa v4, v114, v117 dst_sel:DWORD dst_unused:UNUSED_PAD src0_sel:DWORD src1_sel:BYTE_0
	v_lshrrev_b16 v121, 12, v7
	v_and_b32_e32 v119, 0xff, v15
	v_lshlrev_b32_e32 v11, 4, v118
	v_lshrrev_b16 v122, 12, v3
	v_mul_lo_u16 v131, v39, 34
	v_mul_lo_u16 v15, v121, 17
	s_clause 0x1
	global_load_dwordx4 v[136:139], v4, s[2:3]
	global_load_dwordx4 v[132:135], v11, s[2:3]
	v_add_nc_u16 v11, v148, 0x165
	v_mul_u32_u24_sdwa v4, v9, v13 dst_sel:DWORD dst_unused:UNUSED_PAD src0_sel:WORD_0 src1_sel:DWORD
	v_mul_lo_u16 v17, v122, 17
	v_sub_nc_u16 v15, v2, v15
	v_lshlrev_b32_e32 v14, 4, v119
	v_mul_u32_u24_sdwa v13, v11, v13 dst_sel:DWORD dst_unused:UNUSED_PAD src0_sel:WORD_0 src1_sel:DWORD
	v_lshrrev_b32_e32 v123, 20, v4
	global_load_dwordx4 v[140:143], v16, s[2:3]
	v_and_b32_e32 v126, 0xff, v15
	global_load_dwordx4 v[153:156], v14, s[2:3]
	v_lshrrev_b32_e32 v125, 20, v13
	v_sub_nc_u16 v13, v8, v17
	v_mul_lo_u16 v15, v123, 17
	v_cmp_gt_u16_e64 s0, 17, v148
	v_mul_lo_u16 v17, v125, 17
	v_and_b32_e32 v127, 0xff, v13
	v_lshlrev_b32_e32 v13, 4, v126
	v_sub_nc_u16 v128, v9, v15
	v_sub_nc_u16 v129, v11, v17
	v_lshlrev_b32_e32 v15, 4, v127
	global_load_dwordx4 v[157:160], v13, s[2:3]
	v_lshlrev_b32_sdwa v14, v114, v128 dst_sel:DWORD dst_unused:UNUSED_PAD src0_sel:DWORD src1_sel:WORD_0
	v_lshlrev_b32_sdwa v13, v114, v129 dst_sel:DWORD dst_unused:UNUSED_PAD src0_sel:DWORD src1_sel:WORD_0
	s_clause 0x2
	global_load_dwordx4 v[161:164], v15, s[2:3]
	global_load_dwordx4 v[149:152], v14, s[2:3]
	;; [unrolled: 1-line block ×3, first 2 shown]
	ds_read_b128 v[13:16], v252 offset:6528
	ds_read_b128 v[17:20], v252 offset:11424
	;; [unrolled: 1-line block ×8, first 2 shown]
	ds_read_b128 v[52:55], v252
	ds_read_b128 v[56:59], v252 offset:816
	ds_read_b128 v[60:63], v252 offset:1632
	;; [unrolled: 1-line block ×7, first 2 shown]
	s_waitcnt vmcnt(7) lgkmcnt(15)
	v_mul_f64 v[33:34], v[15:16], v[138:139]
	s_waitcnt vmcnt(6) lgkmcnt(13)
	v_mul_f64 v[84:85], v[23:24], v[134:135]
	v_mul_f64 v[35:36], v[13:14], v[138:139]
	;; [unrolled: 1-line block ×3, first 2 shown]
	s_waitcnt vmcnt(5)
	v_mul_f64 v[37:38], v[19:20], v[142:143]
	v_mul_f64 v[108:109], v[17:18], v[142:143]
	s_waitcnt vmcnt(4) lgkmcnt(12)
	v_mul_f64 v[92:93], v[27:28], v[155:156]
	v_mul_f64 v[94:95], v[25:26], v[155:156]
	v_fma_f64 v[13:14], v[13:14], v[136:137], -v[33:34]
	buffer_store_dword v136, off, s[60:63], 0 offset:48 ; 4-byte Folded Spill
	buffer_store_dword v137, off, s[60:63], 0 offset:52 ; 4-byte Folded Spill
	;; [unrolled: 1-line block ×4, first 2 shown]
	s_waitcnt vmcnt(3) lgkmcnt(11)
	v_mul_f64 v[96:97], v[31:32], v[159:160]
	v_fma_f64 v[21:22], v[21:22], v[132:133], -v[84:85]
	buffer_store_dword v132, off, s[60:63], 0 offset:32 ; 4-byte Folded Spill
	buffer_store_dword v133, off, s[60:63], 0 offset:36 ; 4-byte Folded Spill
	;; [unrolled: 1-line block ×4, first 2 shown]
	v_mul_f64 v[98:99], v[29:30], v[159:160]
	s_waitcnt vmcnt(2) lgkmcnt(10)
	v_mul_f64 v[100:101], v[42:43], v[163:164]
	s_waitcnt vmcnt(1) lgkmcnt(9)
	;; [unrolled: 2-line block ×3, first 2 shown]
	v_mul_f64 v[110:111], v[50:51], v[146:147]
	v_mul_f64 v[102:103], v[40:41], v[163:164]
	;; [unrolled: 1-line block ×4, first 2 shown]
	v_fma_f64 v[25:26], v[25:26], v[153:154], -v[92:93]
	buffer_store_dword v153, off, s[60:63], 0 offset:112 ; 4-byte Folded Spill
	buffer_store_dword v154, off, s[60:63], 0 offset:116 ; 4-byte Folded Spill
	buffer_store_dword v155, off, s[60:63], 0 offset:120 ; 4-byte Folded Spill
	buffer_store_dword v156, off, s[60:63], 0 offset:124 ; 4-byte Folded Spill
	v_fma_f64 v[37:38], v[17:18], v[140:141], -v[37:38]
	v_mul_u32_u24_sdwa v92, v115, v130 dst_sel:DWORD dst_unused:UNUSED_PAD src0_sel:WORD_0 src1_sel:DWORD
	v_mul_u32_u24_sdwa v93, v121, v130 dst_sel:DWORD dst_unused:UNUSED_PAD src0_sel:WORD_0 src1_sel:DWORD
	s_waitcnt lgkmcnt(7)
	v_add_f64 v[13:14], v[52:53], -v[13:14]
	v_fma_f64 v[29:30], v[29:30], v[157:158], -v[96:97]
	buffer_store_dword v157, off, s[60:63], 0 offset:128 ; 4-byte Folded Spill
	buffer_store_dword v158, off, s[60:63], 0 offset:132 ; 4-byte Folded Spill
	;; [unrolled: 1-line block ×4, first 2 shown]
	s_waitcnt lgkmcnt(6)
	v_add_f64 v[17:18], v[56:57], -v[21:22]
	v_mad_u16 v96, v123, 34, v128
	v_fma_f64 v[33:34], v[40:41], v[161:162], -v[100:101]
	buffer_store_dword v161, off, s[60:63], 0 offset:144 ; 4-byte Folded Spill
	buffer_store_dword v162, off, s[60:63], 0 offset:148 ; 4-byte Folded Spill
	;; [unrolled: 1-line block ×4, first 2 shown]
	v_fma_f64 v[39:40], v[44:45], v[149:150], -v[104:105]
	buffer_store_dword v149, off, s[60:63], 0 offset:96 ; 4-byte Folded Spill
	buffer_store_dword v150, off, s[60:63], 0 offset:100 ; 4-byte Folded Spill
	;; [unrolled: 1-line block ×8, first 2 shown]
	v_fma_f64 v[48:49], v[48:49], v[144:145], -v[110:111]
	buffer_store_dword v144, off, s[60:63], 0 offset:80 ; 4-byte Folded Spill
	buffer_store_dword v145, off, s[60:63], 0 offset:84 ; 4-byte Folded Spill
	;; [unrolled: 1-line block ×4, first 2 shown]
	s_waitcnt lgkmcnt(5)
	v_add_f64 v[21:22], v[60:61], -v[25:26]
	s_waitcnt lgkmcnt(1)
	v_add_f64 v[44:45], v[76:77], -v[37:38]
	v_mad_u16 v97, v120, 34, v124
	v_add_lshl_u32 v37, v93, v126, 4
	s_waitcnt lgkmcnt(0)
	s_waitcnt_vscnt null, 0x0
	s_barrier
	buffer_gl0_inv
	v_add_f64 v[25:26], v[64:65], -v[29:30]
	v_add_f64 v[29:30], v[68:69], -v[33:34]
	v_mad_u16 v33, v125, 34, v129
	v_add_f64 v[40:41], v[72:73], -v[39:40]
	v_and_b32_e32 v34, 0xfe, v131
	v_add_lshl_u32 v39, v92, v119, 4
	v_add_f64 v[84:85], v[88:89], -v[48:49]
	v_fma_f64 v[48:49], v[52:53], 2.0, -v[13:14]
	v_fma_f64 v[52:53], v[56:57], 2.0, -v[17:18]
	v_fma_f64 v[56:57], v[60:61], 2.0, -v[21:22]
	v_lshlrev_b32_sdwa v33, v114, v33 dst_sel:DWORD dst_unused:UNUSED_PAD src0_sel:DWORD src1_sel:WORD_0
	v_fma_f64 v[60:61], v[64:65], 2.0, -v[25:26]
	v_fma_f64 v[64:65], v[68:69], 2.0, -v[29:30]
	;; [unrolled: 1-line block ×5, first 2 shown]
	v_add_lshl_u32 v88, v34, v118, 4
	v_fma_f64 v[15:16], v[15:16], v[136:137], v[35:36]
	v_fma_f64 v[23:24], v[23:24], v[132:133], v[86:87]
	;; [unrolled: 1-line block ×3, first 2 shown]
	v_mul_u32_u24_sdwa v94, v122, v130 dst_sel:DWORD dst_unused:UNUSED_PAD src0_sel:WORD_0 src1_sel:DWORD
	v_mad_u16 v95, v116, 34, v117
	v_add_lshl_u32 v34, v94, v127, 4
	v_lshlrev_b32_sdwa v38, v114, v95 dst_sel:DWORD dst_unused:UNUSED_PAD src0_sel:DWORD src1_sel:BYTE_0
	v_add_f64 v[15:16], v[54:55], -v[15:16]
	v_fma_f64 v[31:32], v[31:32], v[157:158], v[98:99]
	buffer_store_dword v38, off, s[60:63], 0 offset:180 ; 4-byte Folded Spill
	v_fma_f64 v[35:36], v[42:43], v[161:162], v[102:103]
	v_fma_f64 v[42:43], v[46:47], v[149:150], v[106:107]
	;; [unrolled: 1-line block ×3, first 2 shown]
	v_add_f64 v[19:20], v[58:59], -v[23:24]
	v_fma_f64 v[50:51], v[50:51], v[144:145], v[112:113]
	v_add_f64 v[23:24], v[62:63], -v[27:28]
                                        ; implicit-def: $vgpr148_vgpr149
	ds_write_b128 v38, v[13:16] offset:272
	v_add_f64 v[27:28], v[66:67], -v[31:32]
	v_add_f64 v[31:32], v[70:71], -v[35:36]
	v_lshlrev_b32_sdwa v36, v114, v96 dst_sel:DWORD dst_unused:UNUSED_PAD src0_sel:DWORD src1_sel:WORD_0
	v_add_f64 v[42:43], v[74:75], -v[42:43]
	v_add_f64 v[46:47], v[78:79], -v[46:47]
	v_lshlrev_b32_sdwa v35, v114, v97 dst_sel:DWORD dst_unused:UNUSED_PAD src0_sel:DWORD src1_sel:WORD_0
	v_add_f64 v[86:87], v[90:91], -v[50:51]
	v_fma_f64 v[50:51], v[54:55], 2.0, -v[15:16]
	v_fma_f64 v[54:55], v[58:59], 2.0, -v[19:20]
	;; [unrolled: 1-line block ×3, first 2 shown]
	ds_write_b128 v38, v[48:51]
	ds_write_b128 v88, v[17:20] offset:272
	v_fma_f64 v[62:63], v[66:67], 2.0, -v[27:28]
	v_fma_f64 v[66:67], v[70:71], 2.0, -v[31:32]
	;; [unrolled: 1-line block ×5, first 2 shown]
	buffer_store_dword v88, off, s[60:63], 0 offset:188 ; 4-byte Folded Spill
	ds_write_b128 v88, v[52:55]
	ds_write_b128 v39, v[56:59]
	buffer_store_dword v39, off, s[60:63], 0 offset:184 ; 4-byte Folded Spill
	ds_write_b128 v39, v[21:24] offset:272
	ds_write_b128 v37, v[60:63]
	buffer_store_dword v37, off, s[60:63], 0 offset:176 ; 4-byte Folded Spill
	ds_write_b128 v37, v[25:28] offset:272
	;; [unrolled: 3-line block ×6, first 2 shown]
	s_waitcnt lgkmcnt(0)
	s_waitcnt_vscnt null, 0x0
	s_barrier
	buffer_gl0_inv
	ds_read_b128 v[92:95], v252
	ds_read_b128 v[88:91], v252 offset:816
	ds_read_b128 v[120:123], v252 offset:8704
	;; [unrolled: 1-line block ×14, first 2 shown]
	s_and_saveexec_b32 s1, s0
	s_cbranch_execz .LBB0_9
; %bb.8:
	ds_read_b128 v[84:87], v252 offset:4080
	ds_read_b128 v[80:83], v252 offset:8432
	;; [unrolled: 1-line block ×3, first 2 shown]
.LBB0_9:
	s_or_b32 exec_lo, exec_lo, s1
	buffer_load_dword v18, off, s[60:63], 0 ; 4-byte Folded Reload
	v_lshrrev_b16 v15, 13, v5
	v_lshrrev_b16 v16, 13, v6
	;; [unrolled: 1-line block ×3, first 2 shown]
	v_lshrrev_b32_e32 v4, 21, v4
	v_lshrrev_b16 v3, 13, v3
	s_mov_b32 s8, 0xe8584caa
	v_mul_lo_u16 v17, v16, 34
	s_mov_b32 s9, 0x3febb67a
	s_mov_b32 s11, 0xbfebb67a
	;; [unrolled: 1-line block ×3, first 2 shown]
	v_sub_nc_u16 v1, v1, v17
	v_and_b32_e32 v152, 0xff, v1
	s_waitcnt vmcnt(0)
	v_add_co_u32 v13, s1, 0xffffffde, v18
	v_add_co_ci_u32_e64 v14, null, 0, -1, s1
	v_cmp_gt_u16_e64 s1, 34, v18
	v_cndmask_b32_e64 v14, v14, 0, s1
	v_cndmask_b32_e64 v13, v13, v18, s1
	v_lshlrev_b64 v[5:6], 5, v[13:14]
	v_mul_lo_u16 v14, v15, 34
	v_sub_nc_u16 v0, v0, v14
	v_add_co_u32 v5, s1, s2, v5
	v_add_co_ci_u32_e64 v6, s1, s3, v6, s1
	s_clause 0x1
	global_load_dwordx4 v[174:177], v[5:6], off offset:288
	global_load_dwordx4 v[55:58], v[5:6], off offset:272
	v_mul_lo_u16 v5, v7, 34
	v_and_b32_e32 v6, 0xff, v0
	v_mul_lo_u16 v0, v4, 34
	v_sub_nc_u16 v1, v2, v5
	v_mul_lo_u16 v2, v3, 34
	v_sub_nc_u16 v14, v9, v0
	v_lshlrev_b32_e32 v4, 5, v6
	v_lshlrev_b32_e32 v5, 5, v152
	v_and_b32_e32 v153, 0xff, v1
	v_sub_nc_u16 v0, v8, v2
	v_lshlrev_b16 v1, 5, v14
	s_clause 0x1
	global_load_dwordx4 v[178:181], v4, s[2:3] offset:288
	global_load_dwordx4 v[182:185], v4, s[2:3] offset:272
	buffer_store_dword v14, off, s[60:63], 0 offset:28 ; 4-byte Folded Spill
	v_lshlrev_b32_e32 v2, 5, v153
	v_and_b32_e32 v154, 0xff, v0
	v_and_b32_e32 v0, 0xffff, v1
	s_clause 0x3
	global_load_dwordx4 v[162:165], v5, s[2:3] offset:288
	global_load_dwordx4 v[166:169], v5, s[2:3] offset:272
	;; [unrolled: 1-line block ×4, first 2 shown]
	v_lshlrev_b32_e32 v2, 5, v154
	v_add_co_u32 v0, s1, s2, v0
	v_add_co_ci_u32_e64 v1, null, s3, 0, s1
	v_cmp_lt_u16_e64 s1, 33, v18
	s_clause 0x3
	global_load_dwordx4 v[73:76], v2, s[2:3] offset:272
	global_load_dwordx4 v[69:72], v2, s[2:3] offset:288
	global_load_dwordx4 v[65:68], v[0:1], off offset:272
	global_load_dwordx4 v[61:64], v[0:1], off offset:288
	v_mov_b32_e32 v0, 0x66
	v_cndmask_b32_e64 v1, 0, 0x66, s1
	v_mul_u32_u24_sdwa v2, v15, v0 dst_sel:DWORD dst_unused:UNUSED_PAD src0_sel:WORD_0 src1_sel:DWORD
	v_mul_u32_u24_sdwa v155, v16, v0 dst_sel:DWORD dst_unused:UNUSED_PAD src0_sel:WORD_0 src1_sel:DWORD
	;; [unrolled: 1-line block ×4, first 2 shown]
	v_add_lshl_u32 v187, v13, v1, 4
	v_add_lshl_u32 v186, v2, v6, 4
	s_waitcnt vmcnt(11) lgkmcnt(12)
	v_mul_f64 v[4:5], v[122:123], v[176:177]
	s_waitcnt vmcnt(10) lgkmcnt(4)
	v_mul_f64 v[0:1], v[146:147], v[57:58]
	v_mul_f64 v[2:3], v[144:145], v[57:58]
	;; [unrolled: 1-line block ×3, first 2 shown]
	s_waitcnt vmcnt(9)
	v_mul_f64 v[17:18], v[110:111], v[180:181]
	s_waitcnt vmcnt(8)
	v_mul_f64 v[13:14], v[130:131], v[184:185]
	v_mul_f64 v[15:16], v[128:129], v[184:185]
	;; [unrolled: 1-line block ×3, first 2 shown]
	s_waitcnt vmcnt(7)
	v_mul_f64 v[25:26], v[134:135], v[164:165]
	s_waitcnt vmcnt(6)
	v_mul_f64 v[21:22], v[114:115], v[168:169]
	;; [unrolled: 2-line block ×3, first 2 shown]
	s_waitcnt vmcnt(4) lgkmcnt(2)
	v_mul_f64 v[29:30], v[142:143], v[172:173]
	v_fma_f64 v[53:54], v[144:145], v[55:56], -v[0:1]
	buffer_store_dword v55, off, s[60:63], 0 offset:304 ; 4-byte Folded Spill
	buffer_store_dword v56, off, s[60:63], 0 offset:308 ; 4-byte Folded Spill
	;; [unrolled: 1-line block ×4, first 2 shown]
	v_mul_f64 v[23:24], v[112:113], v[168:169]
	s_waitcnt vmcnt(3) lgkmcnt(1)
	v_mul_f64 v[37:38], v[138:139], v[75:76]
	s_waitcnt vmcnt(2) lgkmcnt(0)
	v_mul_f64 v[41:42], v[126:127], v[71:72]
	s_waitcnt vmcnt(1)
	v_mul_f64 v[45:46], v[82:83], v[67:68]
	s_waitcnt vmcnt(0)
	v_mul_f64 v[49:50], v[150:151], v[63:64]
	v_mul_f64 v[27:28], v[132:133], v[164:165]
	;; [unrolled: 1-line block ×8, first 2 shown]
	v_fma_f64 v[57:58], v[120:121], v[174:175], -v[4:5]
	buffer_store_dword v174, off, s[60:63], 0 offset:288 ; 4-byte Folded Spill
	buffer_store_dword v175, off, s[60:63], 0 offset:292 ; 4-byte Folded Spill
	buffer_store_dword v176, off, s[60:63], 0 offset:296 ; 4-byte Folded Spill
	buffer_store_dword v177, off, s[60:63], 0 offset:300 ; 4-byte Folded Spill
	v_fma_f64 v[13:14], v[128:129], v[182:183], -v[13:14]
	buffer_store_dword v182, off, s[60:63], 0 offset:336 ; 4-byte Folded Spill
	buffer_store_dword v183, off, s[60:63], 0 offset:340 ; 4-byte Folded Spill
	buffer_store_dword v184, off, s[60:63], 0 offset:344 ; 4-byte Folded Spill
	buffer_store_dword v185, off, s[60:63], 0 offset:348 ; 4-byte Folded Spill
	;; [unrolled: 5-line block ×10, first 2 shown]
	v_add_f64 v[45:46], v[92:93], v[53:54]
	v_add_f64 v[71:72], v[13:14], -v[17:18]
	v_add_f64 v[75:76], v[21:22], v[25:26]
	v_add_f64 v[108:109], v[21:22], -v[25:26]
	v_add_f64 v[116:117], v[29:30], -v[33:34]
	v_fma_f64 v[55:56], v[146:147], v[55:56], v[2:3]
	v_fma_f64 v[2:3], v[148:149], v[61:62], -v[49:50]
	buffer_store_dword v61, off, s[60:63], 0 offset:420 ; 4-byte Folded Spill
	buffer_store_dword v62, off, s[60:63], 0 offset:424 ; 4-byte Folded Spill
	;; [unrolled: 1-line block ×4, first 2 shown]
	v_add_f64 v[63:64], v[13:14], v[17:18]
	v_fma_f64 v[59:60], v[122:123], v[174:175], v[6:7]
	v_fma_f64 v[15:16], v[130:131], v[182:183], v[15:16]
	;; [unrolled: 1-line block ×3, first 2 shown]
	v_add_f64 v[110:111], v[29:30], v[33:34]
	v_fma_f64 v[23:24], v[114:115], v[166:167], v[23:24]
	v_fma_f64 v[27:28], v[134:135], v[162:163], v[27:28]
	v_add_f64 v[124:125], v[0:1], v[2:3]
	v_fma_f64 v[31:32], v[142:143], v[170:171], v[31:32]
	v_add_f64 v[130:131], v[0:1], -v[2:3]
	v_fma_f64 v[35:36], v[118:119], v[156:157], v[35:36]
	v_add_f64 v[118:119], v[37:38], v[41:42]
	v_fma_f64 v[39:40], v[138:139], v[73:74], v[39:40]
	v_add_f64 v[73:74], v[104:105], v[21:22]
	v_fma_f64 v[43:44], v[126:127], v[69:70], v[43:44]
	v_fma_f64 v[6:7], v[82:83], v[65:66], v[47:48]
	v_add_f64 v[81:82], v[96:97], v[29:30]
	v_add_f64 v[29:30], v[100:101], v[37:38]
	;; [unrolled: 1-line block ×3, first 2 shown]
	v_add_f64 v[49:50], v[55:56], -v[59:60]
	v_add_f64 v[37:38], v[37:38], -v[41:42]
	v_add_f64 v[67:68], v[90:91], v[15:16]
	v_add_f64 v[53:54], v[53:54], -v[57:58]
	v_add_f64 v[69:70], v[15:16], v[19:20]
	;; [unrolled: 2-line block ×4, first 2 shown]
	v_add_f64 v[114:115], v[98:99], v[31:32]
	v_add_f64 v[112:113], v[31:32], -v[35:36]
	v_add_f64 v[31:32], v[31:32], v[35:36]
	v_add_f64 v[122:123], v[102:103], v[39:40]
	;; [unrolled: 1-line block ×3, first 2 shown]
	v_add_f64 v[120:121], v[39:40], -v[43:44]
	v_add_f64 v[39:40], v[39:40], v[43:44]
	v_add_f64 v[25:26], v[81:82], v[33:34]
	;; [unrolled: 1-line block ×3, first 2 shown]
	v_fma_f64 v[41:42], v[124:125], -0.5, v[84:85]
	v_fma_f64 v[47:48], v[47:48], -0.5, v[92:93]
	v_add_f64 v[19:20], v[67:68], v[19:20]
	v_fma_f64 v[33:34], v[31:32], -0.5, v[98:99]
	v_add_f64 v[31:32], v[122:123], v[43:44]
	v_fma_f64 v[39:40], v[39:40], -0.5, v[102:103]
	v_fma_f64 v[122:123], v[37:38], s[8:9], v[39:40]
	v_fma_f64 v[4:5], v[150:151], v[61:62], v[51:52]
	v_add_f64 v[51:52], v[94:95], v[55:56]
	v_add_f64 v[55:56], v[55:56], v[59:60]
	;; [unrolled: 1-line block ×4, first 2 shown]
	v_fma_f64 v[57:58], v[75:76], -0.5, v[104:105]
	v_add_f64 v[128:129], v[6:7], v[4:5]
	v_add_f64 v[126:127], v[6:7], -v[4:5]
	v_add_f64 v[15:16], v[51:52], v[59:60]
	v_fma_f64 v[59:60], v[23:24], -0.5, v[106:107]
	v_add_f64 v[23:24], v[79:80], v[27:28]
	v_add_f64 v[27:28], v[114:115], v[35:36]
	v_fma_f64 v[35:36], v[118:119], -0.5, v[100:101]
	v_fma_f64 v[45:46], v[55:56], -0.5, v[94:95]
	;; [unrolled: 1-line block ×3, first 2 shown]
	v_add_f64 v[17:18], v[61:62], v[17:18]
	v_fma_f64 v[55:56], v[69:70], -0.5, v[90:91]
	v_fma_f64 v[61:62], v[110:111], -0.5, v[96:97]
	v_fma_f64 v[110:111], v[116:117], s[10:11], v[33:34]
	v_fma_f64 v[114:115], v[116:117], s[8:9], v[33:34]
	;; [unrolled: 1-line block ×7, first 2 shown]
	v_fma_f64 v[43:44], v[128:129], -0.5, v[86:87]
	v_fma_f64 v[33:34], v[126:127], s[10:11], v[41:42]
	v_fma_f64 v[156:157], v[126:127], s[8:9], v[41:42]
	;; [unrolled: 1-line block ×16, first 2 shown]
	buffer_store_dword v33, off, s[60:63], 0 offset:12 ; 4-byte Folded Spill
	buffer_store_dword v34, off, s[60:63], 0 offset:16 ; 4-byte Folded Spill
	;; [unrolled: 1-line block ×4, first 2 shown]
	v_add_lshl_u32 v35, v155, v152, 4
	v_add_lshl_u32 v34, v160, v153, 4
	;; [unrolled: 1-line block ×3, first 2 shown]
	s_waitcnt_vscnt null, 0x0
	s_barrier
	buffer_gl0_inv
	ds_write_b128 v187, v[13:16]
	ds_write_b128 v187, v[80:83] offset:544
	buffer_store_dword v187, off, s[60:63], 0 offset:356 ; 4-byte Folded Spill
	ds_write_b128 v187, v[88:91] offset:1088
	ds_write_b128 v186, v[17:20]
	ds_write_b128 v186, v[92:95] offset:544
	buffer_store_dword v186, off, s[60:63], 0 offset:352 ; 4-byte Folded Spill
	ds_write_b128 v186, v[96:99] offset:1088
	;; [unrolled: 4-line block ×5, first 2 shown]
	s_and_saveexec_b32 s1, s0
	s_cbranch_execz .LBB0_11
; %bb.10:
	v_add_f64 v[0:1], v[84:85], v[0:1]
	v_add_f64 v[6:7], v[86:87], v[6:7]
	;; [unrolled: 1-line block ×3, first 2 shown]
	buffer_load_dword v1, off, s[60:63], 0 offset:28 ; 4-byte Folded Reload
	v_add_f64 v[4:5], v[6:7], v[4:5]
	v_mov_b32_e32 v0, 4
	s_waitcnt vmcnt(0)
	v_lshlrev_b32_sdwa v0, v0, v1 dst_sel:DWORD dst_unused:UNUSED_PAD src0_sel:DWORD src1_sel:WORD_0
	ds_write_b128 v0, v[156:159] offset:11968
	ds_write_b128 v0, v[2:5] offset:11424
	s_clause 0x3
	buffer_load_dword v1, off, s[60:63], 0 offset:12
	buffer_load_dword v2, off, s[60:63], 0 offset:16
	;; [unrolled: 1-line block ×4, first 2 shown]
	s_waitcnt vmcnt(0)
	ds_write_b128 v0, v[1:4] offset:12512
.LBB0_11:
	s_or_b32 exec_lo, exec_lo, s1
	v_mul_lo_u16 v1, 0xa1, v12
	v_mov_b32_e32 v0, 0xa0a1
	v_add_co_u32 v2, s1, s2, v255
	v_mov_b32_e32 v12, 4
	v_lshrrev_b16 v5, 14, v1
	v_add_co_ci_u32_e64 v3, null, s3, 0, s1
	v_mul_u32_u24_sdwa v4, v9, v0 dst_sel:DWORD dst_unused:UNUSED_PAD src0_sel:WORD_0 src1_sel:DWORD
	v_mul_u32_u24_sdwa v6, v10, v0 dst_sel:DWORD dst_unused:UNUSED_PAD src0_sel:WORD_0 src1_sel:DWORD
	v_mul_lo_u16 v5, 0x66, v5
	v_mul_u32_u24_sdwa v7, v11, v0 dst_sel:DWORD dst_unused:UNUSED_PAD src0_sel:WORD_0 src1_sel:DWORD
	v_add_co_u32 v0, s1, 0x800, v2
	v_add_co_ci_u32_e64 v1, s1, 0, v3, s1
	v_sub_nc_u16 v5, v8, v5
	s_waitcnt lgkmcnt(0)
	s_waitcnt_vscnt null, 0x0
	s_barrier
	buffer_gl0_inv
	s_clause 0x1
	global_load_dwordx4 v[92:95], v255, s[2:3] offset:1360
	global_load_dwordx4 v[88:91], v[0:1], off offset:128
	v_lshlrev_b32_sdwa v71, v12, v5 dst_sel:DWORD dst_unused:UNUSED_PAD src0_sel:DWORD src1_sel:BYTE_0
	v_lshrrev_b32_e32 v4, 22, v4
	v_lshrrev_b32_e32 v6, 22, v6
	;; [unrolled: 1-line block ×3, first 2 shown]
	global_load_dwordx4 v[72:75], v71, s[2:3] offset:1360
	v_mul_lo_u16 v4, 0x66, v4
	v_mul_lo_u16 v6, 0x66, v6
	;; [unrolled: 1-line block ×3, first 2 shown]
	v_sub_nc_u16 v4, v9, v4
	v_sub_nc_u16 v6, v10, v6
	;; [unrolled: 1-line block ×3, first 2 shown]
	v_lshlrev_b32_sdwa v70, v12, v4 dst_sel:DWORD dst_unused:UNUSED_PAD src0_sel:DWORD src1_sel:WORD_0
	v_lshlrev_b32_sdwa v69, v12, v6 dst_sel:DWORD dst_unused:UNUSED_PAD src0_sel:DWORD src1_sel:WORD_0
	;; [unrolled: 1-line block ×3, first 2 shown]
	s_clause 0x2
	global_load_dwordx4 v[108:111], v70, s[2:3] offset:1360
	global_load_dwordx4 v[100:103], v69, s[2:3] offset:1360
	;; [unrolled: 1-line block ×3, first 2 shown]
	ds_read_b128 v[4:7], v252 offset:6528
	ds_read_b128 v[8:11], v252 offset:8160
	;; [unrolled: 1-line block ×8, first 2 shown]
	ds_read_b128 v[80:83], v252
	ds_read_b128 v[84:87], v252 offset:816
	ds_read_b128 v[112:115], v252 offset:1632
	;; [unrolled: 1-line block ×5, first 2 shown]
	s_waitcnt vmcnt(5) lgkmcnt(13)
	v_mul_f64 v[36:37], v[6:7], v[94:95]
	v_mul_f64 v[38:39], v[4:5], v[94:95]
	s_waitcnt lgkmcnt(12)
	v_mul_f64 v[40:41], v[10:11], v[94:95]
	v_mul_f64 v[42:43], v[8:9], v[94:95]
	s_waitcnt vmcnt(4) lgkmcnt(11)
	v_mul_f64 v[44:45], v[14:15], v[90:91]
	v_mul_f64 v[46:47], v[12:13], v[90:91]
	s_waitcnt lgkmcnt(10)
	v_mul_f64 v[48:49], v[18:19], v[90:91]
	s_waitcnt vmcnt(3) lgkmcnt(9)
	v_mul_f64 v[52:53], v[22:23], v[74:75]
	v_mul_f64 v[54:55], v[20:21], v[74:75]
	;; [unrolled: 1-line block ×3, first 2 shown]
	s_waitcnt vmcnt(2) lgkmcnt(8)
	v_mul_f64 v[56:57], v[26:27], v[110:111]
	s_waitcnt vmcnt(1) lgkmcnt(7)
	v_mul_f64 v[60:61], v[30:31], v[102:103]
	v_mul_f64 v[62:63], v[28:29], v[102:103]
	;; [unrolled: 1-line block ×3, first 2 shown]
	s_waitcnt vmcnt(0) lgkmcnt(6)
	v_mul_f64 v[64:65], v[34:35], v[106:107]
	v_mul_f64 v[66:67], v[32:33], v[106:107]
	v_fma_f64 v[36:37], v[4:5], v[92:93], -v[36:37]
	v_fma_f64 v[38:39], v[6:7], v[92:93], v[38:39]
	v_fma_f64 v[52:53], v[20:21], v[72:73], -v[52:53]
	buffer_store_dword v72, off, s[60:63], 0 offset:388 ; 4-byte Folded Spill
	buffer_store_dword v73, off, s[60:63], 0 offset:392 ; 4-byte Folded Spill
	;; [unrolled: 1-line block ×4, first 2 shown]
	ds_read_b128 v[4:7], v252 offset:4896
	v_fma_f64 v[40:41], v[8:9], v[92:93], -v[40:41]
	v_fma_f64 v[42:43], v[10:11], v[92:93], v[42:43]
	ds_read_b128 v[8:11], v252 offset:5712
	v_fma_f64 v[44:45], v[12:13], v[88:89], -v[44:45]
	v_fma_f64 v[46:47], v[14:15], v[88:89], v[46:47]
	v_fma_f64 v[48:49], v[16:17], v[88:89], -v[48:49]
	v_fma_f64 v[50:51], v[18:19], v[88:89], v[50:51]
	s_waitcnt lgkmcnt(0)
	s_waitcnt_vscnt null, 0x0
	s_barrier
	buffer_gl0_inv
	v_fma_f64 v[56:57], v[24:25], v[108:109], -v[56:57]
	v_fma_f64 v[60:61], v[28:29], v[100:101], -v[60:61]
	v_fma_f64 v[62:63], v[30:31], v[100:101], v[62:63]
	v_fma_f64 v[58:59], v[26:27], v[108:109], v[58:59]
	v_fma_f64 v[64:65], v[32:33], v[104:105], -v[64:65]
	v_fma_f64 v[66:67], v[34:35], v[104:105], v[66:67]
	v_add_f64 v[12:13], v[80:81], -v[36:37]
	v_add_f64 v[14:15], v[82:83], -v[38:39]
	;; [unrolled: 1-line block ×14, first 2 shown]
	v_fma_f64 v[80:81], v[80:81], 2.0, -v[12:13]
	v_fma_f64 v[82:83], v[82:83], 2.0, -v[14:15]
	;; [unrolled: 1-line block ×14, first 2 shown]
	v_fma_f64 v[54:55], v[22:23], v[72:73], v[54:55]
	v_add_f64 v[22:23], v[86:87], -v[46:47]
	v_add_f64 v[30:31], v[122:123], -v[54:55]
	v_fma_f64 v[86:87], v[86:87], 2.0, -v[22:23]
	ds_write_b128 v252, v[12:15] offset:1632
	ds_write_b128 v252, v[16:19] offset:4896
	;; [unrolled: 1-line block ×4, first 2 shown]
	ds_write_b128 v252, v[80:83]
	ds_write_b128 v252, v[112:115] offset:3264
	ds_write_b128 v252, v[84:87] offset:816
	;; [unrolled: 1-line block ×8, first 2 shown]
	v_add_co_u32 v4, s1, 0x1000, v2
	v_add_co_ci_u32_e64 v5, s1, 0, v3, s1
	v_fma_f64 v[122:123], v[122:123], 2.0, -v[30:31]
	buffer_store_dword v71, off, s[60:63], 0 offset:372 ; 4-byte Folded Spill
	buffer_store_dword v70, off, s[60:63], 0 offset:368 ; 4-byte Folded Spill
	;; [unrolled: 1-line block ×4, first 2 shown]
	ds_write_b128 v68, v[8:11] offset:9792
	ds_write_b128 v71, v[120:123] offset:6528
	;; [unrolled: 1-line block ×3, first 2 shown]
	s_waitcnt lgkmcnt(0)
	s_waitcnt_vscnt null, 0x0
	s_barrier
	buffer_gl0_inv
	s_clause 0x3
	global_load_dwordx4 v[84:87], v[0:1], off offset:944
	global_load_dwordx4 v[112:115], v[0:1], off offset:1760
	;; [unrolled: 1-line block ×4, first 2 shown]
	ds_read_b128 v[4:7], v252 offset:6528
	ds_read_b128 v[8:11], v252 offset:7344
	;; [unrolled: 1-line block ×8, first 2 shown]
	ds_read_b128 v[80:83], v252
	ds_read_b128 v[124:127], v252 offset:816
	s_waitcnt vmcnt(2) lgkmcnt(8)
	v_mul_f64 v[38:39], v[10:11], v[114:115]
	v_mul_f64 v[0:1], v[6:7], v[86:87]
	;; [unrolled: 1-line block ×4, first 2 shown]
	s_waitcnt vmcnt(1) lgkmcnt(7)
	v_mul_f64 v[42:43], v[14:15], v[118:119]
	v_mul_f64 v[44:45], v[12:13], v[118:119]
	s_waitcnt vmcnt(0) lgkmcnt(6)
	v_mul_f64 v[46:47], v[18:19], v[122:123]
	v_mul_f64 v[48:49], v[16:17], v[122:123]
	s_waitcnt lgkmcnt(5)
	v_mul_f64 v[50:51], v[22:23], v[86:87]
	v_mul_f64 v[52:53], v[20:21], v[86:87]
	s_waitcnt lgkmcnt(4)
	;; [unrolled: 3-line block ×4, first 2 shown]
	v_mul_f64 v[62:63], v[34:35], v[122:123]
	v_mul_f64 v[64:65], v[32:33], v[122:123]
	v_fma_f64 v[38:39], v[8:9], v[112:113], -v[38:39]
	v_fma_f64 v[0:1], v[4:5], v[84:85], -v[0:1]
	v_fma_f64 v[36:37], v[6:7], v[84:85], v[36:37]
	v_fma_f64 v[40:41], v[10:11], v[112:113], v[40:41]
	v_fma_f64 v[42:43], v[12:13], v[116:117], -v[42:43]
	v_fma_f64 v[44:45], v[14:15], v[116:117], v[44:45]
	v_fma_f64 v[46:47], v[16:17], v[120:121], -v[46:47]
	;; [unrolled: 2-line block ×3, first 2 shown]
	v_fma_f64 v[52:53], v[22:23], v[84:85], v[52:53]
	ds_read_b128 v[4:7], v252 offset:1632
	ds_read_b128 v[128:131], v252 offset:2448
	v_fma_f64 v[54:55], v[24:25], v[112:113], -v[54:55]
	v_fma_f64 v[56:57], v[26:27], v[112:113], v[56:57]
	v_fma_f64 v[58:59], v[28:29], v[116:117], -v[58:59]
	v_fma_f64 v[60:61], v[30:31], v[116:117], v[60:61]
	ds_read_b128 v[8:11], v252 offset:3264
	ds_read_b128 v[12:15], v252 offset:4080
	v_fma_f64 v[62:63], v[32:33], v[120:121], -v[62:63]
	v_fma_f64 v[64:65], v[34:35], v[120:121], v[64:65]
	ds_read_b128 v[16:19], v252 offset:4896
	ds_read_b128 v[20:23], v252 offset:5712
	s_waitcnt lgkmcnt(0)
	s_barrier
	v_add_f64 v[28:29], v[124:125], -v[38:39]
	v_add_f64 v[24:25], v[80:81], -v[0:1]
	;; [unrolled: 1-line block ×4, first 2 shown]
	v_add_co_u32 v0, s1, 0x1800, v2
	v_add_co_ci_u32_e64 v1, s1, 0, v3, s1
	v_add_f64 v[32:33], v[4:5], -v[42:43]
	v_add_f64 v[34:35], v[6:7], -v[44:45]
	;; [unrolled: 1-line block ×12, first 2 shown]
	buffer_gl0_inv
	v_fma_f64 v[124:125], v[124:125], 2.0, -v[28:29]
	v_fma_f64 v[80:81], v[80:81], 2.0, -v[24:25]
	;; [unrolled: 1-line block ×16, first 2 shown]
	ds_write_b128 v252, v[24:27] offset:3264
	ds_write_b128 v252, v[28:31] offset:4080
	;; [unrolled: 1-line block ×8, first 2 shown]
	ds_write_b128 v252, v[80:83]
	ds_write_b128 v252, v[124:127] offset:816
	ds_write_b128 v252, v[4:7] offset:1632
	;; [unrolled: 1-line block ×7, first 2 shown]
	s_waitcnt lgkmcnt(0)
	s_barrier
	buffer_gl0_inv
	s_clause 0x1
	global_load_dwordx4 v[124:127], v[0:1], off offset:112
	global_load_dwordx4 v[128:131], v[0:1], off offset:928
	v_add_co_u32 v4, s1, 0x2000, v2
	v_add_co_ci_u32_e64 v5, s1, 0, v3, s1
	s_clause 0x1
	global_load_dwordx4 v[136:139], v[0:1], off offset:1744
	global_load_dwordx4 v[132:135], v[4:5], off offset:512
	v_add_co_u32 v0, s1, 0x2800, v2
	v_add_co_ci_u32_e64 v1, s1, 0, v3, s1
	s_clause 0x3
	global_load_dwordx4 v[140:143], v[4:5], off offset:1328
	global_load_dwordx4 v[144:147], v[0:1], off offset:96
	;; [unrolled: 1-line block ×4, first 2 shown]
	ds_read_b128 v[0:3], v252 offset:6528
	ds_read_b128 v[4:7], v252 offset:7344
	;; [unrolled: 1-line block ×6, first 2 shown]
	s_waitcnt vmcnt(7) lgkmcnt(5)
	v_mul_f64 v[24:25], v[2:3], v[126:127]
	v_mul_f64 v[28:29], v[0:1], v[126:127]
	s_waitcnt vmcnt(6) lgkmcnt(4)
	v_mul_f64 v[30:31], v[6:7], v[130:131]
	v_mul_f64 v[32:33], v[4:5], v[130:131]
	s_waitcnt vmcnt(5) lgkmcnt(3)
	v_mul_f64 v[34:35], v[10:11], v[138:139]
	s_waitcnt vmcnt(4) lgkmcnt(2)
	v_mul_f64 v[38:39], v[14:15], v[134:135]
	v_mul_f64 v[36:37], v[8:9], v[138:139]
	;; [unrolled: 1-line block ×3, first 2 shown]
	s_waitcnt vmcnt(3) lgkmcnt(1)
	v_mul_f64 v[42:43], v[18:19], v[142:143]
	v_mul_f64 v[46:47], v[16:17], v[142:143]
	s_waitcnt vmcnt(2) lgkmcnt(0)
	v_mul_f64 v[48:49], v[22:23], v[146:147]
	v_mul_f64 v[50:51], v[20:21], v[146:147]
	v_fma_f64 v[44:45], v[0:1], v[124:125], -v[24:25]
	ds_read_b128 v[24:27], v252 offset:11424
	v_fma_f64 v[28:29], v[2:3], v[124:125], v[28:29]
	ds_read_b128 v[0:3], v252 offset:12240
	v_fma_f64 v[30:31], v[4:5], v[128:129], -v[30:31]
	v_fma_f64 v[32:33], v[6:7], v[128:129], v[32:33]
	ds_read_b128 v[4:7], v252
	v_fma_f64 v[34:35], v[8:9], v[136:137], -v[34:35]
	v_fma_f64 v[12:13], v[12:13], v[132:133], -v[38:39]
	v_fma_f64 v[36:37], v[10:11], v[136:137], v[36:37]
	ds_read_b128 v[8:11], v252 offset:816
	v_fma_f64 v[14:15], v[14:15], v[132:133], v[40:41]
	v_fma_f64 v[16:17], v[16:17], v[140:141], -v[42:43]
	v_fma_f64 v[18:19], v[18:19], v[140:141], v[46:47]
	v_fma_f64 v[20:21], v[20:21], v[144:145], -v[48:49]
	v_fma_f64 v[22:23], v[22:23], v[144:145], v[50:51]
	s_waitcnt vmcnt(1) lgkmcnt(3)
	v_mul_f64 v[38:39], v[24:25], v[150:151]
	v_mul_f64 v[52:53], v[26:27], v[150:151]
	s_waitcnt vmcnt(0) lgkmcnt(2)
	v_mul_f64 v[40:41], v[2:3], v[154:155]
	s_waitcnt lgkmcnt(1)
	v_add_f64 v[216:217], v[4:5], -v[44:45]
	v_add_f64 v[218:219], v[6:7], -v[28:29]
	s_waitcnt lgkmcnt(0)
	v_add_f64 v[200:201], v[8:9], -v[30:31]
	v_add_f64 v[202:203], v[10:11], -v[32:33]
	v_fma_f64 v[26:27], v[26:27], v[148:149], v[38:39]
	v_mul_f64 v[38:39], v[0:1], v[154:155]
	v_fma_f64 v[28:29], v[0:1], v[152:153], -v[40:41]
	v_fma_f64 v[24:25], v[24:25], v[148:149], -v[52:53]
	v_fma_f64 v[160:161], v[4:5], 2.0, -v[216:217]
	v_fma_f64 v[162:163], v[6:7], 2.0, -v[218:219]
	;; [unrolled: 1-line block ×4, first 2 shown]
	v_fma_f64 v[30:31], v[2:3], v[152:153], v[38:39]
	ds_read_b128 v[0:3], v252 offset:1632
	ds_read_b128 v[4:7], v252 offset:2448
	s_waitcnt lgkmcnt(1)
	v_add_f64 v[204:205], v[0:1], -v[34:35]
	v_add_f64 v[206:207], v[2:3], -v[36:37]
	s_waitcnt lgkmcnt(0)
	v_add_f64 v[196:197], v[4:5], -v[12:13]
	v_add_f64 v[198:199], v[6:7], -v[14:15]
	v_fma_f64 v[220:221], v[0:1], 2.0, -v[204:205]
	v_fma_f64 v[222:223], v[2:3], 2.0, -v[206:207]
	v_fma_f64 v[212:213], v[4:5], 2.0, -v[196:197]
	v_fma_f64 v[214:215], v[6:7], 2.0, -v[198:199]
	ds_read_b128 v[0:3], v252 offset:3264
	ds_read_b128 v[4:7], v252 offset:4080
	s_waitcnt lgkmcnt(1)
	v_add_f64 v[192:193], v[0:1], -v[16:17]
	v_add_f64 v[194:195], v[2:3], -v[18:19]
	s_waitcnt lgkmcnt(0)
	v_add_f64 v[184:185], v[4:5], -v[20:21]
	v_add_f64 v[186:187], v[6:7], -v[22:23]
	v_fma_f64 v[208:209], v[0:1], 2.0, -v[192:193]
	v_fma_f64 v[210:211], v[2:3], 2.0, -v[194:195]
	v_fma_f64 v[188:189], v[4:5], 2.0, -v[184:185]
	v_fma_f64 v[190:191], v[6:7], 2.0, -v[186:187]
	;; [unrolled: 12-line block ×3, first 2 shown]
	ds_write_b128 v252, v[216:219] offset:6528
	ds_write_b128 v252, v[200:203] offset:7344
	;; [unrolled: 1-line block ×8, first 2 shown]
	ds_write_b128 v252, v[160:163]
	ds_write_b128 v252, v[224:227] offset:816
	ds_write_b128 v252, v[220:223] offset:1632
	ds_write_b128 v252, v[212:215] offset:2448
	ds_write_b128 v252, v[208:211] offset:3264
	ds_write_b128 v252, v[188:191] offset:4080
	ds_write_b128 v252, v[176:179] offset:4896
	ds_write_b128 v252, v[168:171] offset:5712
	s_waitcnt lgkmcnt(0)
	s_barrier
	buffer_gl0_inv
	s_and_saveexec_b32 s8, vcc_lo
	s_cbranch_execz .LBB0_13
; %bb.12:
	s_add_u32 s2, s12, 0x3300
	s_addc_u32 s3, s13, 0
	v_add_co_u32 v0, s1, s2, v255
	s_clause 0x1
	global_load_dwordx4 v[236:239], v255, s[2:3]
	global_load_dwordx4 v[180:183], v255, s[2:3] offset:768
	v_add_co_ci_u32_e64 v1, null, s3, 0, s1
	v_add_co_u32 v2, s1, 0x800, v0
	v_or_b32_e32 v4, 0xc00, v255
	v_add_co_ci_u32_e64 v3, s1, 0, v1, s1
	v_or_b32_e32 v6, 0x1800, v255
	s_clause 0x2
	global_load_dwordx4 v[232:235], v255, s[2:3] offset:1536
	global_load_dwordx4 v[228:231], v[2:3], off offset:256
	global_load_dwordx4 v[240:243], v4, s[2:3]
	v_add_co_u32 v4, s1, 0x1000, v0
	v_add_co_ci_u32_e64 v5, s1, 0, v1, s1
	s_clause 0x1
	global_load_dwordx4 v[248:251], v[2:3], off offset:1792
	global_load_dwordx4 v[244:247], v[4:5], off offset:512
	v_add_co_u32 v14, s1, 0x1800, v0
	v_add_co_ci_u32_e64 v15, s1, 0, v1, s1
	s_clause 0x1
	global_load_dwordx4 v[2:5], v[4:5], off offset:1280
	global_load_dwordx4 v[6:9], v6, s[2:3]
	v_add_co_u32 v26, s1, 0x2000, v0
	global_load_dwordx4 v[10:13], v[14:15], off offset:768
	v_or_b32_e32 v18, 0x2400, v255
	v_add_co_ci_u32_e64 v27, s1, 0, v1, s1
	v_add_co_u32 v0, s1, 0x2800, v0
	v_add_co_ci_u32_e64 v1, s1, 0, v1, s1
	s_clause 0x2
	global_load_dwordx4 v[14:17], v[14:15], off offset:1536
	global_load_dwordx4 v[18:21], v18, s[2:3]
	global_load_dwordx4 v[22:25], v[26:27], off offset:256
	v_or_b32_e32 v34, 0x3000, v255
	s_clause 0x3
	global_load_dwordx4 v[26:29], v[26:27], off offset:1792
	global_load_dwordx4 v[30:33], v[0:1], off offset:512
	;; [unrolled: 1-line block ×3, first 2 shown]
	global_load_dwordx4 v[34:37], v34, s[2:3]
	ds_read_b128 v[38:41], v252
	s_waitcnt vmcnt(16) lgkmcnt(0)
	v_mul_f64 v[0:1], v[40:41], v[238:239]
	v_mul_f64 v[42:43], v[38:39], v[238:239]
	v_fma_f64 v[38:39], v[38:39], v[236:237], -v[0:1]
	v_fma_f64 v[40:41], v[40:41], v[236:237], v[42:43]
	ds_write_b128 v252, v[38:41]
	ds_read_b128 v[38:41], v255 offset:768
	ds_read_b128 v[236:239], v255 offset:1536
	;; [unrolled: 1-line block ×8, first 2 shown]
	s_waitcnt vmcnt(15) lgkmcnt(7)
	v_mul_f64 v[0:1], v[40:41], v[182:183]
	v_mul_f64 v[66:67], v[38:39], v[182:183]
	s_waitcnt vmcnt(13) lgkmcnt(5)
	v_mul_f64 v[74:75], v[44:45], v[230:231]
	v_mul_f64 v[76:77], v[42:43], v[230:231]
	;; [unrolled: 1-line block ×4, first 2 shown]
	s_waitcnt vmcnt(12) lgkmcnt(4)
	v_mul_f64 v[78:79], v[48:49], v[242:243]
	v_mul_f64 v[242:243], v[46:47], v[242:243]
	s_waitcnt vmcnt(11) lgkmcnt(3)
	v_mul_f64 v[253:254], v[52:53], v[250:251]
	v_mul_f64 v[250:251], v[50:51], v[250:251]
	s_waitcnt vmcnt(10) lgkmcnt(2)
	v_mul_f64 v[96:97], v[54:55], v[246:247]
	s_waitcnt vmcnt(9) lgkmcnt(1)
	v_mul_f64 v[98:99], v[60:61], v[4:5]
	v_mul_f64 v[4:5], v[58:59], v[4:5]
	v_fma_f64 v[38:39], v[38:39], v[180:181], -v[0:1]
	v_fma_f64 v[40:41], v[40:41], v[180:181], v[66:67]
	ds_read_b128 v[180:183], v255 offset:6912
	ds_read_b128 v[66:69], v255 offset:7680
	v_mul_f64 v[0:1], v[56:57], v[246:247]
	v_fma_f64 v[42:43], v[42:43], v[228:229], -v[74:75]
	v_fma_f64 v[44:45], v[44:45], v[228:229], v[76:77]
	s_waitcnt vmcnt(8) lgkmcnt(2)
	v_mul_f64 v[228:229], v[64:65], v[8:9]
	v_fma_f64 v[230:231], v[236:237], v[232:233], -v[70:71]
	v_fma_f64 v[232:233], v[238:239], v[232:233], v[72:73]
	ds_read_b128 v[234:237], v255 offset:8448
	ds_read_b128 v[70:73], v255 offset:9216
	v_mul_f64 v[8:9], v[62:63], v[8:9]
	v_fma_f64 v[46:47], v[46:47], v[240:241], -v[78:79]
	v_fma_f64 v[48:49], v[48:49], v[240:241], v[242:243]
	ds_read_b128 v[238:241], v255 offset:9984
	ds_read_b128 v[74:77], v255 offset:10752
	v_fma_f64 v[50:51], v[50:51], v[248:249], -v[253:254]
	v_fma_f64 v[52:53], v[52:53], v[248:249], v[250:251]
	ds_read_b128 v[246:249], v255 offset:11520
	v_fma_f64 v[56:57], v[56:57], v[244:245], v[96:97]
	s_waitcnt vmcnt(7) lgkmcnt(6)
	v_mul_f64 v[78:79], v[182:183], v[12:13]
	v_mul_f64 v[12:13], v[180:181], v[12:13]
	s_waitcnt vmcnt(6) lgkmcnt(5)
	v_mul_f64 v[96:97], v[68:69], v[16:17]
	v_mul_f64 v[16:17], v[66:67], v[16:17]
	v_fma_f64 v[54:55], v[54:55], v[244:245], -v[0:1]
	ds_read_b128 v[242:245], v255 offset:12288
	v_fma_f64 v[0:1], v[58:59], v[2:3], -v[98:99]
	s_waitcnt vmcnt(4) lgkmcnt(5)
	v_mul_f64 v[58:59], v[236:237], v[24:25]
	v_mul_f64 v[24:25], v[234:235], v[24:25]
	v_fma_f64 v[2:3], v[60:61], v[2:3], v[4:5]
	s_waitcnt lgkmcnt(4)
	v_mul_f64 v[60:61], v[72:73], v[20:21]
	v_mul_f64 v[98:99], v[70:71], v[20:21]
	v_fma_f64 v[4:5], v[62:63], v[6:7], -v[228:229]
	s_waitcnt vmcnt(3) lgkmcnt(3)
	v_mul_f64 v[62:63], v[240:241], v[28:29]
	v_mul_f64 v[28:29], v[238:239], v[28:29]
	v_fma_f64 v[6:7], v[64:65], v[6:7], v[8:9]
	s_waitcnt vmcnt(2) lgkmcnt(2)
	v_mul_f64 v[64:65], v[76:77], v[32:33]
	v_mul_f64 v[32:33], v[74:75], v[32:33]
	v_fma_f64 v[8:9], v[180:181], v[10:11], -v[78:79]
	s_waitcnt vmcnt(1) lgkmcnt(1)
	v_mul_f64 v[78:79], v[248:249], v[82:83]
	v_mul_f64 v[82:83], v[246:247], v[82:83]
	s_waitcnt vmcnt(0) lgkmcnt(0)
	v_mul_f64 v[180:181], v[244:245], v[36:37]
	v_mul_f64 v[36:37], v[242:243], v[36:37]
	v_fma_f64 v[10:11], v[182:183], v[10:11], v[12:13]
	v_fma_f64 v[12:13], v[66:67], v[14:15], -v[96:97]
	v_fma_f64 v[14:15], v[68:69], v[14:15], v[16:17]
	v_fma_f64 v[20:21], v[234:235], v[22:23], -v[58:59]
	;; [unrolled: 2-line block ×7, first 2 shown]
	v_fma_f64 v[34:35], v[244:245], v[34:35], v[36:37]
	ds_write_b128 v255, v[38:41] offset:768
	ds_write_b128 v255, v[230:233] offset:1536
	;; [unrolled: 1-line block ×16, first 2 shown]
.LBB0_13:
	s_or_b32 exec_lo, exec_lo, s8
	s_waitcnt lgkmcnt(0)
	s_barrier
	buffer_gl0_inv
	s_and_saveexec_b32 s1, vcc_lo
	s_cbranch_execz .LBB0_15
; %bb.14:
	ds_read_b128 v[160:163], v252
	ds_read_b128 v[216:219], v252 offset:768
	ds_read_b128 v[224:227], v252 offset:1536
	;; [unrolled: 1-line block ×16, first 2 shown]
.LBB0_15:
	s_or_b32 exec_lo, exec_lo, s1
	s_waitcnt lgkmcnt(0)
	v_add_f64 v[28:29], v[218:219], -v[158:159]
	s_mov_b32 s8, 0x5d8e7cdc
	s_mov_b32 s9, 0xbfd71e95
	v_add_f64 v[26:27], v[216:217], v[156:157]
	v_add_f64 v[30:31], v[218:219], v[158:159]
	v_add_f64 v[234:235], v[226:227], -v[166:167]
	s_mov_b32 s2, 0x370991
	s_mov_b32 s28, 0x2a9d6da3
	;; [unrolled: 1-line block ×4, first 2 shown]
	v_add_f64 v[232:233], v[224:225], v[164:165]
	v_add_f64 v[32:33], v[216:217], -v[156:157]
	v_add_f64 v[238:239], v[226:227], v[166:167]
	v_add_f64 v[228:229], v[202:203], -v[170:171]
	s_mov_b32 s10, 0x75d4884
	s_mov_b32 s34, 0x7c9e640b
	;; [unrolled: 1-line block ×4, first 2 shown]
	v_add_f64 v[246:247], v[224:225], -v[164:165]
	v_add_f64 v[230:231], v[200:201], v[168:169]
	v_add_f64 v[244:245], v[222:223], -v[174:175]
	s_mov_b32 s18, 0xeb564b22
	v_mul_f64 v[76:77], v[28:29], s[8:9]
	s_mov_b32 s19, 0xbfefdd0d
	v_add_f64 v[250:251], v[202:203], v[170:171]
	v_add_f64 v[242:243], v[220:221], v[172:173]
	v_mul_f64 v[34:35], v[30:31], s[2:3]
	v_mul_f64 v[40:41], v[234:235], s[28:29]
	s_mov_b32 s20, 0x3259b75e
	s_mov_b32 s21, 0x3fb79ee6
	v_add_f64 v[80:81], v[200:201], -v[168:169]
	v_add_f64 v[6:7], v[222:223], v[174:175]
	v_add_f64 v[14:15], v[220:221], -v[172:173]
	s_mov_b32 s38, 0x923c349f
	v_mul_f64 v[48:49], v[238:239], s[10:11]
	v_mul_f64 v[44:45], v[228:229], s[34:35]
	s_mov_b32 s39, 0xbfeec746
	v_add_f64 v[82:83], v[204:205], v[176:177]
	v_add_f64 v[20:21], v[206:207], v[178:179]
	s_mov_b32 s30, 0xc61f0d01
	s_mov_b32 s31, 0xbfd183b1
	v_add_f64 v[22:23], v[204:205], -v[176:177]
	v_mul_f64 v[54:55], v[244:245], s[18:19]
	v_add_f64 v[12:13], v[214:215], -v[186:187]
	v_fma_f64 v[0:1], v[26:27], s[2:3], -v[76:77]
	s_mov_b32 s24, 0x6c9a05f6
	v_mul_f64 v[62:63], v[250:251], s[16:17]
	s_mov_b32 s25, 0xbfe9895b
	v_fma_f64 v[2:3], v[32:33], s[8:9], v[34:35]
	v_fma_f64 v[4:5], v[232:233], s[10:11], -v[40:41]
	v_add_f64 v[16:17], v[214:215], v[186:187]
	s_mov_b32 s22, 0x6ed5f1bb
	s_mov_b32 s23, 0xbfe348c8
	v_mul_f64 v[56:57], v[6:7], s[20:21]
	v_add_f64 v[24:25], v[212:213], -v[184:185]
	s_mov_b32 s36, 0x4363dd80
	v_fma_f64 v[8:9], v[246:247], s[28:29], v[48:49]
	v_fma_f64 v[10:11], v[230:231], s[16:17], -v[44:45]
	s_mov_b32 s37, 0xbfe0d888
	v_add_f64 v[253:254], v[196:197], v[188:189]
	v_mul_f64 v[64:65], v[20:21], s[30:31]
	s_mov_b32 s26, 0x910ea3b9
	s_mov_b32 s27, 0xbfeb34fa
	v_add_f64 v[18:19], v[196:197], -v[188:189]
	v_add_f64 v[248:249], v[210:211], -v[194:195]
	v_mul_f64 v[60:61], v[12:13], s[24:25]
	v_add_f64 v[0:1], v[160:161], v[0:1]
	s_mov_b32 s42, 0xacd6c6b4
	s_mov_b32 s43, 0xbfc7851a
	v_add_f64 v[236:237], v[208:209], v[192:193]
	v_add_f64 v[2:3], v[162:163], v[2:3]
	s_mov_b32 s40, 0x7faef3
	v_mul_f64 v[66:67], v[16:17], s[22:23]
	s_mov_b32 s41, 0xbfef7484
	v_add_f64 v[240:241], v[210:211], v[194:195]
	s_barrier
	buffer_gl0_inv
	v_mul_f64 v[42:43], v[248:249], s[42:43]
	v_add_f64 v[0:1], v[4:5], v[0:1]
	v_fma_f64 v[4:5], v[80:81], s[34:35], v[62:63]
	v_add_f64 v[2:3], v[8:9], v[2:3]
	v_fma_f64 v[8:9], v[242:243], s[20:21], -v[54:55]
	v_mul_f64 v[46:47], v[240:241], s[40:41]
	v_add_f64 v[0:1], v[10:11], v[0:1]
	v_add_f64 v[2:3], v[4:5], v[2:3]
	v_fma_f64 v[4:5], v[14:15], s[18:19], v[56:57]
	v_add_f64 v[8:9], v[8:9], v[0:1]
	v_add_f64 v[0:1], v[206:207], -v[178:179]
	v_add_f64 v[2:3], v[4:5], v[2:3]
	v_mul_f64 v[52:53], v[0:1], s[38:39]
	v_fma_f64 v[4:5], v[82:83], s[30:31], -v[52:53]
	v_add_f64 v[4:5], v[4:5], v[8:9]
	v_fma_f64 v[8:9], v[22:23], s[38:39], v[64:65]
	v_add_f64 v[8:9], v[8:9], v[2:3]
	v_add_f64 v[2:3], v[212:213], v[184:185]
	v_fma_f64 v[10:11], v[2:3], s[22:23], -v[60:61]
	v_add_f64 v[4:5], v[10:11], v[4:5]
	v_fma_f64 v[10:11], v[24:25], s[24:25], v[66:67]
	v_add_f64 v[36:37], v[10:11], v[8:9]
	v_add_f64 v[10:11], v[198:199], -v[190:191]
	v_mul_f64 v[50:51], v[10:11], s[36:37]
	v_fma_f64 v[8:9], v[253:254], s[26:27], -v[50:51]
	v_add_f64 v[4:5], v[8:9], v[4:5]
	v_add_f64 v[8:9], v[198:199], v[190:191]
	v_mul_f64 v[58:59], v[8:9], s[26:27]
	v_fma_f64 v[38:39], v[18:19], s[36:37], v[58:59]
	v_add_f64 v[36:37], v[38:39], v[36:37]
	v_fma_f64 v[38:39], v[236:237], s[40:41], -v[42:43]
	v_add_f64 v[180:181], v[38:39], v[4:5]
	v_add_f64 v[4:5], v[208:209], -v[192:193]
	v_fma_f64 v[38:39], v[4:5], s[42:43], v[46:47]
	v_add_f64 v[182:183], v[38:39], v[36:37]
	s_and_saveexec_b32 s1, vcc_lo
	s_cbranch_execz .LBB0_17
; %bb.16:
	v_add_f64 v[36:37], v[162:163], v[218:219]
	v_add_f64 v[38:39], v[160:161], v[216:217]
	s_mov_b32 s45, 0x3fd71e95
	s_mov_b32 s44, s8
	v_mov_b32_e32 v217, v57
	v_mov_b32_e32 v216, v56
	s_mov_b32 s47, 0x3fe58eea
	s_mov_b32 s46, s28
	v_mov_b32_e32 v219, v59
	v_mov_b32_e32 v218, v58
	s_mov_b32 s49, 0x3feca52d
	s_mov_b32 s48, s34
	;; [unrolled: 1-line block ×10, first 2 shown]
	v_add_f64 v[36:37], v[36:37], v[226:227]
	v_add_f64 v[38:39], v[38:39], v[224:225]
	v_mov_b32_e32 v225, v65
	v_mov_b32_e32 v224, v64
	v_mov_b32_e32 v227, v67
	v_mov_b32_e32 v226, v66
	v_add_f64 v[36:37], v[36:37], v[202:203]
	v_add_f64 v[38:39], v[38:39], v[200:201]
	v_mov_b32_e32 v201, v41
	v_mov_b32_e32 v200, v40
	v_mul_f64 v[40:41], v[32:33], s[42:43]
	v_mov_b32_e32 v203, v43
	v_mov_b32_e32 v202, v42
	v_add_f64 v[36:37], v[36:37], v[222:223]
	v_add_f64 v[38:39], v[38:39], v[220:221]
	v_mov_b32_e32 v221, v61
	v_mov_b32_e32 v220, v60
	v_fma_f64 v[42:43], v[30:31], s[40:41], v[40:41]
	v_fma_f64 v[40:41], v[30:31], s[40:41], -v[40:41]
	v_mov_b32_e32 v223, v63
	v_mov_b32_e32 v222, v62
	v_add_f64 v[36:37], v[36:37], v[206:207]
	v_add_f64 v[38:39], v[38:39], v[204:205]
	v_mov_b32_e32 v205, v45
	v_mov_b32_e32 v204, v44
	v_mul_f64 v[44:45], v[246:247], s[44:45]
	v_mov_b32_e32 v207, v47
	v_add_f64 v[42:43], v[162:163], v[42:43]
	v_mov_b32_e32 v206, v46
	v_add_f64 v[40:41], v[162:163], v[40:41]
	v_add_f64 v[36:37], v[36:37], v[214:215]
	;; [unrolled: 1-line block ×3, first 2 shown]
	v_mov_b32_e32 v213, v53
	v_mov_b32_e32 v212, v52
	v_fma_f64 v[46:47], v[238:239], s[2:3], v[44:45]
	v_mov_b32_e32 v215, v55
	v_mov_b32_e32 v214, v54
	v_fma_f64 v[44:45], v[238:239], s[2:3], -v[44:45]
	v_add_f64 v[36:37], v[36:37], v[198:199]
	v_add_f64 v[38:39], v[38:39], v[196:197]
	;; [unrolled: 1-line block ×3, first 2 shown]
	v_mul_f64 v[46:47], v[28:29], s[42:43]
	v_add_f64 v[40:41], v[44:45], v[40:41]
	v_add_f64 v[36:37], v[36:37], v[210:211]
	;; [unrolled: 1-line block ×3, first 2 shown]
	v_mov_b32_e32 v209, v49
	v_mov_b32_e32 v211, v51
	;; [unrolled: 1-line block ×3, first 2 shown]
	v_fma_f64 v[48:49], v[26:27], s[40:41], -v[46:47]
	v_mov_b32_e32 v210, v50
	v_mul_f64 v[50:51], v[234:235], s[44:45]
	v_fma_f64 v[44:45], v[26:27], s[40:41], v[46:47]
	v_add_f64 v[36:37], v[36:37], v[194:195]
	v_add_f64 v[38:39], v[38:39], v[192:193]
	;; [unrolled: 1-line block ×3, first 2 shown]
	v_fma_f64 v[52:53], v[232:233], s[2:3], -v[50:51]
	v_fma_f64 v[46:47], v[232:233], s[2:3], v[50:51]
	v_add_f64 v[44:45], v[160:161], v[44:45]
	v_mul_f64 v[50:51], v[234:235], s[48:49]
	v_add_f64 v[36:37], v[36:37], v[190:191]
	v_add_f64 v[38:39], v[38:39], v[188:189]
	v_add_f64 v[48:49], v[52:53], v[48:49]
	v_mul_f64 v[52:53], v[80:81], s[36:37]
	v_add_f64 v[44:45], v[46:47], v[44:45]
	v_add_f64 v[36:37], v[36:37], v[186:187]
	;; [unrolled: 1-line block ×3, first 2 shown]
	v_fma_f64 v[54:55], v[250:251], s[26:27], v[52:53]
	v_fma_f64 v[46:47], v[250:251], s[26:27], -v[52:53]
	v_fma_f64 v[52:53], v[232:233], s[16:17], -v[50:51]
	v_add_f64 v[36:37], v[36:37], v[178:179]
	v_add_f64 v[38:39], v[38:39], v[176:177]
	;; [unrolled: 1-line block ×3, first 2 shown]
	v_mul_f64 v[54:55], v[228:229], s[36:37]
	v_add_f64 v[40:41], v[46:47], v[40:41]
	v_fma_f64 v[56:57], v[230:231], s[26:27], -v[54:55]
	v_fma_f64 v[46:47], v[230:231], s[26:27], v[54:55]
	v_add_f64 v[48:49], v[56:57], v[48:49]
	v_mul_f64 v[56:57], v[14:15], s[46:47]
	v_add_f64 v[44:45], v[46:47], v[44:45]
	v_fma_f64 v[58:59], v[6:7], s[10:11], v[56:57]
	v_fma_f64 v[46:47], v[6:7], s[10:11], -v[56:57]
	v_add_f64 v[42:43], v[58:59], v[42:43]
	v_mul_f64 v[58:59], v[244:245], s[46:47]
	v_add_f64 v[40:41], v[46:47], v[40:41]
	v_fma_f64 v[60:61], v[242:243], s[10:11], -v[58:59]
	v_fma_f64 v[46:47], v[242:243], s[10:11], v[58:59]
	v_add_f64 v[48:49], v[60:61], v[48:49]
	v_mul_f64 v[60:61], v[22:23], s[24:25]
	v_add_f64 v[44:45], v[46:47], v[44:45]
	v_fma_f64 v[62:63], v[20:21], s[22:23], v[60:61]
	v_fma_f64 v[46:47], v[20:21], s[22:23], -v[60:61]
	v_add_f64 v[42:43], v[62:63], v[42:43]
	;; [unrolled: 10-line block ×5, first 2 shown]
	v_mul_f64 v[42:43], v[248:249], s[52:53]
	v_add_f64 v[198:199], v[46:47], v[40:41]
	v_mul_f64 v[40:41], v[32:33], s[36:37]
	v_fma_f64 v[74:75], v[236:237], s[20:21], -v[42:43]
	v_fma_f64 v[42:43], v[236:237], s[20:21], v[42:43]
	v_add_f64 v[192:193], v[74:75], v[48:49]
	v_add_f64 v[196:197], v[42:43], v[44:45]
	v_fma_f64 v[42:43], v[30:31], s[26:27], v[40:41]
	v_mul_f64 v[44:45], v[246:247], s[48:49]
	v_fma_f64 v[40:41], v[30:31], s[26:27], -v[40:41]
	v_add_f64 v[42:43], v[162:163], v[42:43]
	v_fma_f64 v[46:47], v[238:239], s[16:17], v[44:45]
	v_fma_f64 v[44:45], v[238:239], s[16:17], -v[44:45]
	v_add_f64 v[40:41], v[162:163], v[40:41]
	v_add_f64 v[42:43], v[46:47], v[42:43]
	v_mul_f64 v[46:47], v[28:29], s[36:37]
	v_add_f64 v[40:41], v[44:45], v[40:41]
	v_fma_f64 v[48:49], v[26:27], s[26:27], -v[46:47]
	v_fma_f64 v[44:45], v[26:27], s[26:27], v[46:47]
	v_fma_f64 v[46:47], v[232:233], s[16:17], v[50:51]
	v_mul_f64 v[50:51], v[234:235], s[54:55]
	v_add_f64 v[48:49], v[160:161], v[48:49]
	v_add_f64 v[44:45], v[160:161], v[44:45]
	v_add_f64 v[48:49], v[52:53], v[48:49]
	v_mul_f64 v[52:53], v[80:81], s[18:19]
	v_add_f64 v[44:45], v[46:47], v[44:45]
	v_fma_f64 v[54:55], v[250:251], s[20:21], v[52:53]
	v_fma_f64 v[46:47], v[250:251], s[20:21], -v[52:53]
	v_fma_f64 v[52:53], v[232:233], s[30:31], -v[50:51]
	v_add_f64 v[42:43], v[54:55], v[42:43]
	v_mul_f64 v[54:55], v[228:229], s[18:19]
	v_add_f64 v[40:41], v[46:47], v[40:41]
	v_fma_f64 v[56:57], v[230:231], s[20:21], -v[54:55]
	v_fma_f64 v[46:47], v[230:231], s[20:21], v[54:55]
	v_add_f64 v[48:49], v[56:57], v[48:49]
	v_mul_f64 v[56:57], v[14:15], s[50:51]
	v_add_f64 v[44:45], v[46:47], v[44:45]
	v_fma_f64 v[58:59], v[6:7], s[22:23], v[56:57]
	v_fma_f64 v[46:47], v[6:7], s[22:23], -v[56:57]
	v_add_f64 v[42:43], v[58:59], v[42:43]
	v_mul_f64 v[58:59], v[244:245], s[50:51]
	v_add_f64 v[40:41], v[46:47], v[40:41]
	v_fma_f64 v[60:61], v[242:243], s[22:23], -v[58:59]
	v_fma_f64 v[46:47], v[242:243], s[22:23], v[58:59]
	v_add_f64 v[48:49], v[60:61], v[48:49]
	v_mul_f64 v[60:61], v[22:23], s[8:9]
	v_add_f64 v[44:45], v[46:47], v[44:45]
	v_fma_f64 v[62:63], v[20:21], s[2:3], v[60:61]
	;; [unrolled: 10-line block ×5, first 2 shown]
	v_fma_f64 v[46:47], v[240:241], s[30:31], -v[72:73]
	v_add_f64 v[190:191], v[74:75], v[42:43]
	v_mul_f64 v[42:43], v[248:249], s[38:39]
	v_add_f64 v[186:187], v[46:47], v[40:41]
	v_mul_f64 v[40:41], v[32:33], s[24:25]
	v_fma_f64 v[74:75], v[236:237], s[30:31], -v[42:43]
	v_fma_f64 v[42:43], v[236:237], s[30:31], v[42:43]
	v_add_f64 v[188:189], v[74:75], v[48:49]
	v_add_f64 v[184:185], v[42:43], v[44:45]
	v_fma_f64 v[42:43], v[30:31], s[22:23], v[40:41]
	v_mul_f64 v[44:45], v[246:247], s[54:55]
	v_add_f64 v[42:43], v[162:163], v[42:43]
	v_fma_f64 v[46:47], v[238:239], s[30:31], v[44:45]
	v_add_f64 v[42:43], v[46:47], v[42:43]
	v_mul_f64 v[46:47], v[28:29], s[24:25]
	v_fma_f64 v[48:49], v[26:27], s[22:23], -v[46:47]
	v_add_f64 v[48:49], v[160:161], v[48:49]
	v_add_f64 v[48:49], v[52:53], v[48:49]
	v_mul_f64 v[52:53], v[80:81], s[8:9]
	v_fma_f64 v[54:55], v[250:251], s[2:3], v[52:53]
	v_add_f64 v[42:43], v[54:55], v[42:43]
	v_mul_f64 v[54:55], v[228:229], s[8:9]
	v_fma_f64 v[56:57], v[230:231], s[2:3], -v[54:55]
	v_add_f64 v[48:49], v[56:57], v[48:49]
	v_mul_f64 v[56:57], v[14:15], s[36:37]
	v_fma_f64 v[58:59], v[6:7], s[26:27], v[56:57]
	v_add_f64 v[42:43], v[58:59], v[42:43]
	v_mul_f64 v[58:59], v[244:245], s[36:37]
	v_fma_f64 v[60:61], v[242:243], s[26:27], -v[58:59]
	;; [unrolled: 6-line block ×6, first 2 shown]
	v_fma_f64 v[42:43], v[236:237], s[16:17], v[42:43]
	v_add_f64 v[176:177], v[74:75], v[48:49]
	v_add_f64 v[48:49], v[36:37], v[174:175]
	v_fma_f64 v[36:37], v[30:31], s[22:23], -v[40:41]
	v_add_f64 v[74:75], v[38:39], v[172:173]
	v_fma_f64 v[38:39], v[238:239], s[30:31], -v[44:45]
	v_fma_f64 v[40:41], v[232:233], s[30:31], v[50:51]
	v_mul_f64 v[44:45], v[32:33], s[38:39]
	v_add_f64 v[36:37], v[162:163], v[36:37]
	v_add_f64 v[36:37], v[38:39], v[36:37]
	v_fma_f64 v[38:39], v[26:27], s[22:23], v[46:47]
	v_fma_f64 v[46:47], v[30:31], s[30:31], v[44:45]
	v_fma_f64 v[44:45], v[30:31], s[30:31], -v[44:45]
	v_add_f64 v[38:39], v[160:161], v[38:39]
	v_add_f64 v[46:47], v[162:163], v[46:47]
	;; [unrolled: 1-line block ×4, first 2 shown]
	v_fma_f64 v[40:41], v[250:251], s[2:3], -v[52:53]
	v_mul_f64 v[52:53], v[32:33], s[34:35]
	v_add_f64 v[36:37], v[40:41], v[36:37]
	v_fma_f64 v[40:41], v[230:231], s[2:3], v[54:55]
	v_fma_f64 v[54:55], v[30:31], s[16:17], v[52:53]
	v_fma_f64 v[52:53], v[30:31], s[16:17], -v[52:53]
	v_add_f64 v[38:39], v[40:41], v[38:39]
	v_fma_f64 v[40:41], v[6:7], s[26:27], -v[56:57]
	v_mul_f64 v[56:57], v[32:33], s[28:29]
	v_add_f64 v[54:55], v[162:163], v[54:55]
	v_add_f64 v[52:53], v[162:163], v[52:53]
	;; [unrolled: 1-line block ×3, first 2 shown]
	v_fma_f64 v[40:41], v[242:243], s[26:27], v[58:59]
	v_fma_f64 v[58:59], v[30:31], s[10:11], v[56:57]
	v_add_f64 v[38:39], v[40:41], v[38:39]
	v_fma_f64 v[40:41], v[20:21], s[20:21], -v[60:61]
	v_mul_f64 v[60:61], v[28:29], s[34:35]
	v_add_f64 v[58:59], v[162:163], v[58:59]
	v_add_f64 v[36:37], v[40:41], v[36:37]
	v_fma_f64 v[40:41], v[82:83], s[20:21], v[62:63]
	v_add_f64 v[38:39], v[40:41], v[38:39]
	v_fma_f64 v[40:41], v[16:17], s[10:11], -v[64:65]
	v_add_f64 v[36:37], v[40:41], v[36:37]
	v_fma_f64 v[40:41], v[2:3], s[10:11], v[66:67]
	v_fma_f64 v[66:67], v[26:27], s[16:17], -v[60:61]
	v_fma_f64 v[60:61], v[26:27], s[16:17], v[60:61]
	v_add_f64 v[38:39], v[40:41], v[38:39]
	v_fma_f64 v[40:41], v[8:9], s[40:41], -v[68:69]
	v_add_f64 v[66:67], v[160:161], v[66:67]
	v_add_f64 v[60:61], v[160:161], v[60:61]
	;; [unrolled: 1-line block ×3, first 2 shown]
	v_fma_f64 v[40:41], v[253:254], s[40:41], v[70:71]
	v_mul_f64 v[70:71], v[246:247], s[56:57]
	v_add_f64 v[40:41], v[40:41], v[38:39]
	v_fma_f64 v[38:39], v[240:241], s[16:17], -v[72:73]
	v_fma_f64 v[72:73], v[238:239], s[26:27], v[70:71]
	v_fma_f64 v[70:71], v[238:239], s[26:27], -v[70:71]
	v_add_f64 v[38:39], v[38:39], v[36:37]
	v_add_f64 v[36:37], v[42:43], v[40:41]
	;; [unrolled: 1-line block ×3, first 2 shown]
	v_mul_f64 v[48:49], v[32:33], s[18:19]
	v_mul_f64 v[32:33], v[32:33], s[8:9]
	v_add_f64 v[46:47], v[72:73], v[46:47]
	v_mul_f64 v[72:73], v[80:81], s[46:47]
	v_add_f64 v[42:43], v[74:75], v[168:169]
	v_add_f64 v[44:45], v[70:71], v[44:45]
	v_mul_f64 v[70:71], v[22:23], s[42:43]
	v_add_f64 v[40:41], v[40:41], v[166:167]
	v_fma_f64 v[50:51], v[30:31], s[20:21], -v[48:49]
	v_fma_f64 v[48:49], v[30:31], s[20:21], v[48:49]
	v_fma_f64 v[30:31], v[30:31], s[10:11], -v[56:57]
	v_add_f64 v[32:33], v[34:35], -v[32:33]
	v_mul_f64 v[34:35], v[28:29], s[38:39]
	v_mul_f64 v[56:57], v[28:29], s[18:19]
	;; [unrolled: 1-line block ×3, first 2 shown]
	v_fma_f64 v[74:75], v[250:251], s[10:11], v[72:73]
	v_fma_f64 v[72:73], v[250:251], s[10:11], -v[72:73]
	v_add_f64 v[42:43], v[42:43], v[164:165]
	v_mul_f64 v[164:165], v[234:235], s[18:19]
	v_add_f64 v[50:51], v[162:163], v[50:51]
	v_add_f64 v[48:49], v[162:163], v[48:49]
	;; [unrolled: 1-line block ×4, first 2 shown]
	v_fma_f64 v[62:63], v[26:27], s[30:31], -v[34:35]
	v_fma_f64 v[34:35], v[26:27], s[30:31], v[34:35]
	v_fma_f64 v[64:65], v[26:27], s[20:21], -v[56:57]
	v_fma_f64 v[56:57], v[26:27], s[20:21], v[56:57]
	;; [unrolled: 2-line block ×3, first 2 shown]
	v_mul_f64 v[26:27], v[26:27], s[2:3]
	v_add_f64 v[46:47], v[74:75], v[46:47]
	v_mul_f64 v[74:75], v[14:15], s[34:35]
	v_add_f64 v[44:45], v[72:73], v[44:45]
	v_mul_f64 v[72:73], v[24:25], s[52:53]
	v_mul_f64 v[162:163], v[234:235], s[24:25]
	v_fma_f64 v[168:169], v[232:233], s[20:21], v[164:165]
	v_fma_f64 v[164:165], v[232:233], s[20:21], -v[164:165]
	v_add_f64 v[62:63], v[160:161], v[62:63]
	v_add_f64 v[34:35], v[160:161], v[34:35]
	;; [unrolled: 1-line block ×7, first 2 shown]
	v_fma_f64 v[76:77], v[6:7], s[16:17], v[74:75]
	v_fma_f64 v[74:75], v[6:7], s[16:17], -v[74:75]
	v_fma_f64 v[166:167], v[232:233], s[22:23], v[162:163]
	v_fma_f64 v[162:163], v[232:233], s[22:23], -v[162:163]
	v_add_f64 v[68:69], v[164:165], v[68:69]
	v_add_f64 v[28:29], v[168:169], v[28:29]
	;; [unrolled: 1-line block ×4, first 2 shown]
	v_mul_f64 v[76:77], v[234:235], s[56:57]
	v_add_f64 v[44:45], v[74:75], v[44:45]
	v_mul_f64 v[74:75], v[234:235], s[42:43]
	v_add_f64 v[66:67], v[162:163], v[66:67]
	v_add_f64 v[60:61], v[166:167], v[60:61]
	v_fma_f64 v[78:79], v[232:233], s[26:27], -v[76:77]
	v_fma_f64 v[76:77], v[232:233], s[26:27], v[76:77]
	v_add_f64 v[62:63], v[78:79], v[62:63]
	v_fma_f64 v[78:79], v[20:21], s[40:41], v[70:71]
	v_add_f64 v[34:35], v[76:77], v[34:35]
	v_fma_f64 v[76:77], v[16:17], s[20:21], v[72:73]
	v_fma_f64 v[70:71], v[20:21], s[40:41], -v[70:71]
	v_add_f64 v[46:47], v[78:79], v[46:47]
	v_mul_f64 v[78:79], v[228:229], s[46:47]
	v_add_f64 v[44:45], v[70:71], v[44:45]
	v_mul_f64 v[70:71], v[228:229], s[54:55]
	v_add_f64 v[46:47], v[76:77], v[46:47]
	v_fma_f64 v[96:97], v[230:231], s[10:11], -v[78:79]
	v_mul_f64 v[76:77], v[246:247], s[42:43]
	v_fma_f64 v[78:79], v[230:231], s[10:11], v[78:79]
	v_add_f64 v[62:63], v[96:97], v[62:63]
	v_fma_f64 v[96:97], v[238:239], s[40:41], -v[76:77]
	v_fma_f64 v[76:77], v[238:239], s[40:41], v[76:77]
	v_add_f64 v[34:35], v[78:79], v[34:35]
	v_add_f64 v[50:51], v[96:97], v[50:51]
	;; [unrolled: 1-line block ×3, first 2 shown]
	v_fma_f64 v[76:77], v[232:233], s[40:41], -v[74:75]
	v_mul_f64 v[96:97], v[244:245], s[34:35]
	v_fma_f64 v[74:75], v[232:233], s[40:41], v[74:75]
	v_add_f64 v[64:65], v[76:77], v[64:65]
	v_mul_f64 v[76:77], v[18:19], s[8:9]
	v_fma_f64 v[98:99], v[242:243], s[16:17], -v[96:97]
	v_add_f64 v[56:57], v[74:75], v[56:57]
	v_mul_f64 v[74:75], v[14:15], s[44:45]
	v_fma_f64 v[96:97], v[242:243], s[16:17], v[96:97]
	v_fma_f64 v[78:79], v[8:9], s[2:3], v[76:77]
	v_add_f64 v[62:63], v[98:99], v[62:63]
	v_fma_f64 v[76:77], v[8:9], s[2:3], -v[76:77]
	v_add_f64 v[34:35], v[96:97], v[34:35]
	v_add_f64 v[46:47], v[78:79], v[46:47]
	v_mul_f64 v[78:79], v[80:81], s[54:55]
	v_fma_f64 v[98:99], v[250:251], s[30:31], -v[78:79]
	v_fma_f64 v[78:79], v[250:251], s[30:31], v[78:79]
	v_add_f64 v[50:51], v[98:99], v[50:51]
	v_add_f64 v[48:49], v[78:79], v[48:49]
	v_fma_f64 v[78:79], v[230:231], s[30:31], -v[70:71]
	v_mul_f64 v[98:99], v[0:1], s[42:43]
	v_fma_f64 v[70:71], v[230:231], s[30:31], v[70:71]
	v_add_f64 v[64:65], v[78:79], v[64:65]
	v_fma_f64 v[78:79], v[6:7], s[2:3], -v[74:75]
	v_fma_f64 v[74:75], v[6:7], s[2:3], v[74:75]
	v_fma_f64 v[160:161], v[82:83], s[40:41], -v[98:99]
	v_add_f64 v[56:57], v[70:71], v[56:57]
	v_fma_f64 v[70:71], v[16:17], s[20:21], -v[72:73]
	v_add_f64 v[50:51], v[78:79], v[50:51]
	v_fma_f64 v[78:79], v[82:83], s[40:41], v[98:99]
	v_add_f64 v[48:49], v[74:75], v[48:49]
	v_mul_f64 v[74:75], v[12:13], s[52:53]
	v_add_f64 v[62:63], v[160:161], v[62:63]
	v_add_f64 v[44:45], v[70:71], v[44:45]
	v_mul_f64 v[70:71], v[22:23], s[34:35]
	s_mov_b32 s53, 0x3fc7851a
	s_mov_b32 s52, s42
	v_add_f64 v[34:35], v[78:79], v[34:35]
	v_fma_f64 v[78:79], v[2:3], s[20:21], -v[74:75]
	v_fma_f64 v[74:75], v[2:3], s[20:21], v[74:75]
	v_add_f64 v[44:45], v[76:77], v[44:45]
	v_fma_f64 v[72:73], v[20:21], s[16:17], -v[70:71]
	v_fma_f64 v[70:71], v[20:21], s[16:17], v[70:71]
	v_add_f64 v[62:63], v[78:79], v[62:63]
	v_mul_f64 v[78:79], v[244:245], s[44:45]
	v_add_f64 v[34:35], v[74:75], v[34:35]
	v_add_f64 v[50:51], v[72:73], v[50:51]
	;; [unrolled: 1-line block ×3, first 2 shown]
	v_mul_f64 v[70:71], v[0:1], s[34:35]
	v_mul_f64 v[72:73], v[246:247], s[24:25]
	v_fma_f64 v[96:97], v[242:243], s[2:3], -v[78:79]
	v_fma_f64 v[74:75], v[82:83], s[16:17], -v[70:71]
	v_fma_f64 v[70:71], v[82:83], s[16:17], v[70:71]
	v_add_f64 v[64:65], v[96:97], v[64:65]
	v_fma_f64 v[96:97], v[238:239], s[22:23], v[72:73]
	v_fma_f64 v[72:73], v[238:239], s[22:23], -v[72:73]
	v_add_f64 v[64:65], v[74:75], v[64:65]
	v_fma_f64 v[74:75], v[242:243], s[2:3], v[78:79]
	v_add_f64 v[54:55], v[96:97], v[54:55]
	v_add_f64 v[52:53], v[72:73], v[52:53]
	v_mul_f64 v[72:73], v[246:247], s[18:19]
	v_add_f64 v[56:57], v[74:75], v[56:57]
	v_mul_f64 v[74:75], v[10:11], s[8:9]
	v_fma_f64 v[160:161], v[238:239], s[20:21], -v[72:73]
	v_fma_f64 v[72:73], v[238:239], s[20:21], v[72:73]
	v_add_f64 v[56:57], v[70:71], v[56:57]
	v_fma_f64 v[78:79], v[253:254], s[2:3], -v[74:75]
	v_fma_f64 v[74:75], v[253:254], s[2:3], v[74:75]
	v_mul_f64 v[70:71], v[18:19], s[50:51]
	v_add_f64 v[30:31], v[160:161], v[30:31]
	v_mul_f64 v[160:161], v[80:81], s[34:35]
	v_add_f64 v[58:59], v[72:73], v[58:59]
	;; [unrolled: 2-line block ×4, first 2 shown]
	v_add_f64 v[160:161], v[222:223], -v[160:161]
	v_fma_f64 v[162:163], v[230:231], s[40:41], v[72:73]
	v_fma_f64 v[72:73], v[230:231], s[40:41], -v[72:73]
	v_fma_f64 v[74:75], v[16:17], s[26:27], v[78:79]
	v_fma_f64 v[96:97], v[16:17], s[26:27], -v[78:79]
	v_add_f64 v[60:61], v[162:163], v[60:61]
	v_add_f64 v[66:67], v[72:73], v[66:67]
	;; [unrolled: 1-line block ×3, first 2 shown]
	v_mul_f64 v[74:75], v[12:13], s[36:37]
	v_add_f64 v[50:51], v[96:97], v[50:51]
	v_mul_f64 v[96:97], v[80:81], s[52:53]
	v_mul_f64 v[80:81], v[80:81], s[24:25]
	v_fma_f64 v[76:77], v[2:3], s[26:27], -v[74:75]
	v_fma_f64 v[74:75], v[2:3], s[26:27], v[74:75]
	v_fma_f64 v[98:99], v[250:251], s[40:41], v[96:97]
	v_fma_f64 v[96:97], v[250:251], s[40:41], -v[96:97]
	v_add_f64 v[64:65], v[76:77], v[64:65]
	v_fma_f64 v[76:77], v[8:9], s[22:23], -v[70:71]
	v_add_f64 v[54:55], v[98:99], v[54:55]
	v_add_f64 v[56:57], v[74:75], v[56:57]
	v_mul_f64 v[74:75], v[22:23], s[46:47]
	v_mul_f64 v[98:99], v[232:233], s[10:11]
	v_add_f64 v[52:53], v[96:97], v[52:53]
	v_fma_f64 v[96:97], v[250:251], s[22:23], -v[80:81]
	v_fma_f64 v[80:81], v[250:251], s[22:23], v[80:81]
	v_add_f64 v[50:51], v[76:77], v[50:51]
	v_mul_f64 v[76:77], v[14:15], s[54:55]
	v_add_f64 v[98:99], v[98:99], v[200:201]
	v_add_f64 v[30:31], v[96:97], v[30:31]
	v_mul_f64 v[96:97], v[14:15], s[18:19]
	v_mul_f64 v[14:15], v[14:15], s[42:43]
	v_fma_f64 v[78:79], v[6:7], s[30:31], v[76:77]
	v_fma_f64 v[72:73], v[6:7], s[30:31], -v[76:77]
	v_mul_f64 v[76:77], v[244:245], s[42:43]
	v_add_f64 v[26:27], v[98:99], v[26:27]
	v_mul_f64 v[98:99], v[228:229], s[24:25]
	v_add_f64 v[96:97], v[216:217], -v[96:97]
	v_add_f64 v[54:55], v[78:79], v[54:55]
	v_fma_f64 v[78:79], v[20:21], s[10:11], v[74:75]
	v_add_f64 v[52:53], v[72:73], v[52:53]
	v_fma_f64 v[72:73], v[6:7], s[40:41], -v[14:15]
	v_fma_f64 v[6:7], v[6:7], s[40:41], v[14:15]
	v_add_f64 v[14:15], v[80:81], v[58:59]
	v_mul_f64 v[58:59], v[244:245], s[54:55]
	v_fma_f64 v[166:167], v[230:231], s[22:23], v[98:99]
	v_fma_f64 v[98:99], v[230:231], s[22:23], -v[98:99]
	v_fma_f64 v[80:81], v[242:243], s[40:41], v[76:77]
	v_fma_f64 v[76:77], v[242:243], s[40:41], -v[76:77]
	v_add_f64 v[54:55], v[78:79], v[54:55]
	v_mul_f64 v[78:79], v[246:247], s[28:29]
	v_add_f64 v[30:31], v[72:73], v[30:31]
	v_mul_f64 v[72:73], v[22:23], s[38:39]
	v_mul_f64 v[22:23], v[22:23], s[56:57]
	v_add_f64 v[6:7], v[6:7], v[14:15]
	v_add_f64 v[28:29], v[166:167], v[28:29]
	;; [unrolled: 1-line block ×3, first 2 shown]
	v_mul_f64 v[14:15], v[0:1], s[46:47]
	v_mul_f64 v[0:1], v[0:1], s[56:57]
	v_add_f64 v[78:79], v[208:209], -v[78:79]
	v_add_f64 v[72:73], v[224:225], -v[72:73]
	v_add_f64 v[28:29], v[80:81], v[28:29]
	v_add_f64 v[68:69], v[76:77], v[68:69]
	v_mul_f64 v[76:77], v[24:25], s[8:9]
	v_mul_f64 v[80:81], v[4:5], s[46:47]
	v_add_f64 v[32:33], v[78:79], v[32:33]
	v_mul_f64 v[78:79], v[230:231], s[16:17]
	v_add_f64 v[32:33], v[160:161], v[32:33]
	v_add_f64 v[78:79], v[78:79], v[204:205]
	v_mul_f64 v[160:161], v[242:243], s[20:21]
	v_add_f64 v[32:33], v[96:97], v[32:33]
	v_add_f64 v[26:27], v[78:79], v[26:27]
	v_fma_f64 v[78:79], v[242:243], s[30:31], v[58:59]
	v_fma_f64 v[58:59], v[242:243], s[30:31], -v[58:59]
	v_add_f64 v[160:161], v[160:161], v[214:215]
	v_mul_f64 v[96:97], v[82:83], s[30:31]
	v_add_f64 v[32:33], v[72:73], v[32:33]
	v_mul_f64 v[72:73], v[2:3], s[22:23]
	v_add_f64 v[60:61], v[78:79], v[60:61]
	v_add_f64 v[58:59], v[58:59], v[66:67]
	v_fma_f64 v[66:67], v[20:21], s[10:11], -v[74:75]
	v_fma_f64 v[74:75], v[82:83], s[26:27], v[0:1]
	v_fma_f64 v[0:1], v[82:83], s[26:27], -v[0:1]
	v_mul_f64 v[78:79], v[10:11], s[50:51]
	v_add_f64 v[96:97], v[96:97], v[212:213]
	v_add_f64 v[26:27], v[160:161], v[26:27]
	;; [unrolled: 1-line block ×4, first 2 shown]
	v_fma_f64 v[66:67], v[20:21], s[26:27], -v[22:23]
	v_fma_f64 v[20:21], v[20:21], s[26:27], v[22:23]
	v_fma_f64 v[22:23], v[82:83], s[10:11], v[14:15]
	v_fma_f64 v[14:15], v[82:83], s[10:11], -v[14:15]
	v_add_f64 v[28:29], v[74:75], v[28:29]
	v_fma_f64 v[74:75], v[16:17], s[2:3], -v[76:77]
	v_add_f64 v[0:1], v[0:1], v[68:69]
	v_add_f64 v[26:27], v[96:97], v[26:27]
	v_mul_f64 v[68:69], v[253:254], s[26:27]
	v_mul_f64 v[82:83], v[248:249], s[46:47]
	;; [unrolled: 1-line block ×3, first 2 shown]
	v_add_f64 v[30:31], v[66:67], v[30:31]
	v_mul_f64 v[66:67], v[24:25], s[24:25]
	v_mul_f64 v[24:25], v[24:25], s[54:55]
	v_add_f64 v[22:23], v[22:23], v[60:61]
	v_mul_f64 v[60:61], v[12:13], s[8:9]
	v_mul_f64 v[12:13], v[12:13], s[54:55]
	v_add_f64 v[14:15], v[14:15], v[58:59]
	v_add_f64 v[52:53], v[74:75], v[52:53]
	v_fma_f64 v[58:59], v[16:17], s[2:3], v[76:77]
	v_mul_f64 v[76:77], v[18:19], s[18:19]
	v_add_f64 v[6:7], v[20:21], v[6:7]
	v_add_f64 v[26:27], v[72:73], v[26:27]
	v_fma_f64 v[72:73], v[253:254], s[22:23], v[78:79]
	v_add_f64 v[68:69], v[68:69], v[210:211]
	v_add_f64 v[66:67], v[226:227], -v[66:67]
	v_fma_f64 v[74:75], v[16:17], s[30:31], -v[24:25]
	v_fma_f64 v[16:17], v[16:17], s[30:31], v[24:25]
	v_fma_f64 v[20:21], v[2:3], s[2:3], v[60:61]
	v_fma_f64 v[24:25], v[2:3], s[2:3], -v[60:61]
	v_fma_f64 v[60:61], v[2:3], s[30:31], v[12:13]
	v_fma_f64 v[2:3], v[2:3], s[30:31], -v[12:13]
	v_mul_f64 v[12:13], v[18:19], s[36:37]
	v_mul_f64 v[18:19], v[18:19], s[48:49]
	v_add_f64 v[54:55], v[58:59], v[54:55]
	v_mul_f64 v[58:59], v[4:5], s[42:43]
	v_add_f64 v[56:57], v[72:73], v[56:57]
	v_add_f64 v[26:27], v[68:69], v[26:27]
	v_fma_f64 v[68:69], v[240:241], s[10:11], -v[80:81]
	v_fma_f64 v[80:81], v[240:241], s[10:11], v[80:81]
	v_add_f64 v[32:33], v[66:67], v[32:33]
	v_add_f64 v[30:31], v[74:75], v[30:31]
	v_fma_f64 v[74:75], v[8:9], s[20:21], -v[76:77]
	v_mul_f64 v[66:67], v[10:11], s[18:19]
	v_mul_f64 v[10:11], v[10:11], s[48:49]
	v_add_f64 v[28:29], v[60:61], v[28:29]
	v_fma_f64 v[60:61], v[8:9], s[22:23], v[70:71]
	v_add_f64 v[12:13], v[218:219], -v[12:13]
	v_fma_f64 v[70:71], v[253:254], s[22:23], -v[78:79]
	v_add_f64 v[0:1], v[2:3], v[0:1]
	v_mul_f64 v[2:3], v[248:249], s[44:45]
	v_add_f64 v[20:21], v[20:21], v[22:23]
	v_fma_f64 v[22:23], v[8:9], s[16:17], -v[18:19]
	v_add_f64 v[6:7], v[16:17], v[6:7]
	v_mul_f64 v[16:17], v[4:5], s[36:37]
	v_add_f64 v[14:15], v[24:25], v[14:15]
	v_mul_f64 v[24:25], v[236:237], s[40:41]
	v_add_f64 v[58:59], v[206:207], -v[58:59]
	v_add_f64 v[52:53], v[74:75], v[52:53]
	v_fma_f64 v[74:75], v[8:9], s[20:21], v[76:77]
	v_mul_f64 v[76:77], v[4:5], s[24:25]
	v_fma_f64 v[8:9], v[8:9], s[16:17], v[18:19]
	v_fma_f64 v[18:19], v[253:254], s[20:21], v[66:67]
	v_add_f64 v[12:13], v[12:13], v[32:33]
	v_add_f64 v[64:65], v[70:71], v[64:65]
	v_fma_f64 v[78:79], v[253:254], s[16:17], v[10:11]
	v_fma_f64 v[70:71], v[236:237], s[2:3], v[2:3]
	v_fma_f64 v[166:167], v[236:237], s[2:3], -v[2:3]
	v_mul_f64 v[4:5], v[4:5], s[44:45]
	v_add_f64 v[22:23], v[22:23], v[30:31]
	v_mul_f64 v[30:31], v[248:249], s[36:37]
	v_fma_f64 v[66:67], v[253:254], s[20:21], -v[66:67]
	v_fma_f64 v[10:11], v[253:254], s[16:17], -v[10:11]
	v_add_f64 v[24:25], v[24:25], v[202:203]
	v_add_f64 v[48:49], v[60:61], v[48:49]
	v_fma_f64 v[60:61], v[236:237], s[10:11], v[82:83]
	v_fma_f64 v[82:83], v[236:237], s[10:11], -v[82:83]
	v_fma_f64 v[98:99], v[240:241], s[26:27], v[16:17]
	v_add_f64 v[54:55], v[74:75], v[54:55]
	v_fma_f64 v[32:33], v[240:241], s[22:23], -v[76:77]
	v_fma_f64 v[74:75], v[236:237], s[22:23], v[96:97]
	v_fma_f64 v[76:77], v[240:241], s[22:23], v[76:77]
	v_fma_f64 v[96:97], v[236:237], s[22:23], -v[96:97]
	v_add_f64 v[164:165], v[8:9], v[6:7]
	v_add_f64 v[28:29], v[78:79], v[28:29]
	;; [unrolled: 1-line block ×3, first 2 shown]
	v_fma_f64 v[18:19], v[240:241], s[26:27], -v[16:17]
	v_fma_f64 v[20:21], v[240:241], s[2:3], -v[4:5]
	v_fma_f64 v[162:163], v[240:241], s[2:3], v[4:5]
	v_fma_f64 v[72:73], v[236:237], s[26:27], v[30:31]
	v_add_f64 v[66:67], v[66:67], v[14:15]
	v_fma_f64 v[160:161], v[236:237], s[26:27], -v[30:31]
	v_add_f64 v[168:169], v[10:11], v[0:1]
	v_add_f64 v[16:17], v[24:25], v[26:27]
	;; [unrolled: 1-line block ×6, first 2 shown]
	buffer_load_dword v32, off, s[60:63], 0 ; 4-byte Folded Reload
	v_add_f64 v[0:1], v[74:75], v[34:35]
	v_add_f64 v[26:27], v[76:77], v[46:47]
	;; [unrolled: 1-line block ×3, first 2 shown]
	v_mov_b32_e32 v45, 4
	v_add_f64 v[34:35], v[98:99], v[54:55]
	v_add_f64 v[10:11], v[18:19], v[52:53]
	v_add_f64 v[14:15], v[20:21], v[22:23]
	v_add_f64 v[22:23], v[40:41], v[158:159]
	v_add_f64 v[20:21], v[42:43], v[156:157]
	v_add_f64 v[18:19], v[58:59], v[12:13]
	v_add_f64 v[12:13], v[70:71], v[28:29]
	v_add_f64 v[8:9], v[72:73], v[78:79]
	v_add_f64 v[28:29], v[82:83], v[64:65]
	v_add_f64 v[42:43], v[162:163], v[164:165]
	v_add_f64 v[40:41], v[166:167], v[168:169]
	s_waitcnt vmcnt(0)
	v_mul_lo_u16 v44, v32, 17
	v_add_f64 v[32:33], v[160:161], v[66:67]
	v_lshlrev_b32_sdwa v44, v45, v44 dst_sel:DWORD dst_unused:UNUSED_PAD src0_sel:DWORD src1_sel:WORD_0
	ds_write_b128 v44, v[20:23]
	ds_write_b128 v44, v[16:19] offset:16
	ds_write_b128 v44, v[12:15] offset:32
	;; [unrolled: 1-line block ×16, first 2 shown]
.LBB0_17:
	s_or_b32 exec_lo, exec_lo, s1
	s_waitcnt lgkmcnt(0)
	s_barrier
	buffer_gl0_inv
	ds_read_b128 v[0:3], v252 offset:6528
	ds_read_b128 v[4:7], v252 offset:7344
	;; [unrolled: 1-line block ×8, first 2 shown]
	s_clause 0xb
	buffer_load_dword v156, off, s[60:63], 0 offset:48
	buffer_load_dword v157, off, s[60:63], 0 offset:52
	;; [unrolled: 1-line block ×12, first 2 shown]
	s_waitcnt vmcnt(8) lgkmcnt(7)
	v_mul_f64 v[48:49], v[158:159], v[2:3]
	v_mul_f64 v[50:51], v[158:159], v[0:1]
	s_waitcnt vmcnt(0) lgkmcnt(5)
	v_mul_f64 v[56:57], v[170:171], v[10:11]
	v_mul_f64 v[58:59], v[170:171], v[8:9]
	s_clause 0x3
	buffer_load_dword v170, off, s[60:63], 0 offset:128
	buffer_load_dword v171, off, s[60:63], 0 offset:132
	;; [unrolled: 1-line block ×4, first 2 shown]
	v_mul_f64 v[52:53], v[98:99], v[6:7]
	v_mul_f64 v[54:55], v[98:99], v[4:5]
	v_fma_f64 v[80:81], v[156:157], v[0:1], v[48:49]
	v_fma_f64 v[82:83], v[156:157], v[2:3], -v[50:51]
	v_fma_f64 v[8:9], v[168:169], v[8:9], v[56:57]
	v_fma_f64 v[10:11], v[168:169], v[10:11], -v[58:59]
	;; [unrolled: 2-line block ×3, first 2 shown]
	s_waitcnt vmcnt(0) lgkmcnt(4)
	v_mul_f64 v[60:61], v[172:173], v[14:15]
	v_mul_f64 v[62:63], v[172:173], v[12:13]
	s_clause 0xb
	buffer_load_dword v172, off, s[60:63], 0 offset:144
	buffer_load_dword v173, off, s[60:63], 0 offset:148
	;; [unrolled: 1-line block ×12, first 2 shown]
	v_fma_f64 v[56:57], v[170:171], v[12:13], v[60:61]
	v_fma_f64 v[58:59], v[170:171], v[14:15], -v[62:63]
	s_waitcnt vmcnt(8) lgkmcnt(3)
	v_mul_f64 v[64:65], v[174:175], v[18:19]
	s_waitcnt vmcnt(4) lgkmcnt(2)
	v_mul_f64 v[68:69], v[166:167], v[22:23]
	;; [unrolled: 2-line block ×3, first 2 shown]
	v_mul_f64 v[74:75], v[160:161], v[24:25]
	s_clause 0x3
	buffer_load_dword v160, off, s[60:63], 0 offset:80
	buffer_load_dword v161, off, s[60:63], 0 offset:84
	;; [unrolled: 1-line block ×4, first 2 shown]
	ds_read_b128 v[32:35], v252
	ds_read_b128 v[36:39], v252 offset:816
	ds_read_b128 v[40:43], v252 offset:1632
	;; [unrolled: 1-line block ×7, first 2 shown]
	s_waitcnt vmcnt(0) lgkmcnt(0)
	s_barrier
	buffer_gl0_inv
	v_mul_f64 v[66:67], v[174:175], v[16:17]
	v_mul_f64 v[70:71], v[166:167], v[20:21]
	v_fma_f64 v[60:61], v[172:173], v[16:17], v[64:65]
	v_fma_f64 v[64:65], v[164:165], v[20:21], v[68:69]
	;; [unrolled: 1-line block ×3, first 2 shown]
	v_add_f64 v[16:17], v[32:33], -v[80:81]
	v_add_f64 v[20:21], v[36:37], -v[52:53]
	;; [unrolled: 1-line block ×3, first 2 shown]
	v_fma_f64 v[62:63], v[172:173], v[18:19], -v[66:67]
	v_add_f64 v[18:19], v[34:35], -v[82:83]
	v_fma_f64 v[66:67], v[164:165], v[22:23], -v[70:71]
	v_add_f64 v[22:23], v[38:39], -v[54:55]
	;; [unrolled: 2-line block ×3, first 2 shown]
	v_add_f64 v[52:53], v[0:1], -v[60:61]
	v_add_f64 v[60:61], v[4:5], -v[68:69]
	v_fma_f64 v[32:33], v[32:33], 2.0, -v[16:17]
	v_fma_f64 v[36:37], v[36:37], 2.0, -v[20:21]
	v_fma_f64 v[40:41], v[40:41], 2.0, -v[24:25]
	v_add_f64 v[54:55], v[2:3], -v[62:63]
	v_fma_f64 v[34:35], v[34:35], 2.0, -v[18:19]
	v_fma_f64 v[38:39], v[38:39], 2.0, -v[22:23]
	v_add_f64 v[62:63], v[6:7], -v[70:71]
	v_fma_f64 v[42:43], v[42:43], 2.0, -v[26:27]
	v_fma_f64 v[0:1], v[0:1], 2.0, -v[52:53]
	;; [unrolled: 1-line block ×5, first 2 shown]
	v_mul_f64 v[76:77], v[162:163], v[30:31]
	v_mul_f64 v[78:79], v[162:163], v[28:29]
	v_fma_f64 v[72:73], v[160:161], v[28:29], v[76:77]
	v_add_f64 v[28:29], v[44:45], -v[56:57]
	v_add_f64 v[56:57], v[48:49], -v[64:65]
	buffer_load_dword v64, off, s[60:63], 0 offset:180 ; 4-byte Folded Reload
	v_fma_f64 v[74:75], v[160:161], v[30:31], -v[78:79]
	v_add_f64 v[30:31], v[46:47], -v[58:59]
	v_add_f64 v[58:59], v[50:51], -v[66:67]
	s_waitcnt vmcnt(0)
	ds_write_b128 v64, v[16:19] offset:272
	ds_write_b128 v64, v[32:35]
	buffer_load_dword v16, off, s[60:63], 0 offset:188 ; 4-byte Folded Reload
	v_fma_f64 v[44:45], v[44:45], 2.0, -v[28:29]
	v_fma_f64 v[46:47], v[46:47], 2.0, -v[30:31]
	;; [unrolled: 1-line block ×4, first 2 shown]
	v_add_f64 v[8:9], v[12:13], -v[72:73]
	v_add_f64 v[10:11], v[14:15], -v[74:75]
	s_waitcnt vmcnt(0)
	ds_write_b128 v16, v[36:39]
	ds_write_b128 v16, v[20:23] offset:272
	buffer_load_dword v16, off, s[60:63], 0 offset:184 ; 4-byte Folded Reload
	v_fma_f64 v[12:13], v[12:13], 2.0, -v[8:9]
	v_fma_f64 v[14:15], v[14:15], 2.0, -v[10:11]
	s_waitcnt vmcnt(0)
	ds_write_b128 v16, v[40:43]
	ds_write_b128 v16, v[24:27] offset:272
	buffer_load_dword v16, off, s[60:63], 0 offset:176 ; 4-byte Folded Reload
	s_waitcnt vmcnt(0)
	ds_write_b128 v16, v[44:47]
	ds_write_b128 v16, v[28:31] offset:272
	buffer_load_dword v16, off, s[60:63], 0 offset:172 ; 4-byte Folded Reload
	;; [unrolled: 4-line block ×5, first 2 shown]
	s_waitcnt vmcnt(0)
	ds_write_b128 v0, v[12:15]
	ds_write_b128 v0, v[8:11] offset:272
	s_waitcnt lgkmcnt(0)
	s_barrier
	buffer_gl0_inv
	ds_read_b128 v[28:31], v252
	ds_read_b128 v[20:23], v252 offset:816
	ds_read_b128 v[184:187], v252 offset:8704
	;; [unrolled: 1-line block ×14, first 2 shown]
	s_and_saveexec_b32 s1, s0
	s_cbranch_execz .LBB0_19
; %bb.18:
	ds_read_b128 v[8:11], v252 offset:4080
	ds_read_b128 v[180:183], v252 offset:8432
	;; [unrolled: 1-line block ×3, first 2 shown]
	s_waitcnt lgkmcnt(0)
	buffer_store_dword v0, off, s[60:63], 0 offset:12 ; 4-byte Folded Spill
	buffer_store_dword v1, off, s[60:63], 0 offset:16 ; 4-byte Folded Spill
	;; [unrolled: 1-line block ×4, first 2 shown]
.LBB0_19:
	s_or_b32 exec_lo, exec_lo, s1
	s_clause 0xb
	buffer_load_dword v198, off, s[60:63], 0 offset:304
	buffer_load_dword v199, off, s[60:63], 0 offset:308
	;; [unrolled: 1-line block ×12, first 2 shown]
	s_mov_b32 s2, 0xe8584caa
	s_mov_b32 s3, 0xbfebb67a
	;; [unrolled: 1-line block ×4, first 2 shown]
	s_waitcnt vmcnt(8) lgkmcnt(4)
	v_mul_f64 v[0:1], v[200:201], v[190:191]
	v_mul_f64 v[4:5], v[200:201], v[188:189]
	s_clause 0xb
	buffer_load_dword v200, off, s[60:63], 0 offset:320
	buffer_load_dword v201, off, s[60:63], 0 offset:324
	;; [unrolled: 1-line block ×12, first 2 shown]
	s_waitcnt vmcnt(16)
	v_mul_f64 v[6:7], v[70:71], v[184:185]
	v_mul_f64 v[2:3], v[70:71], v[186:187]
	s_waitcnt vmcnt(12)
	v_mul_f64 v[40:41], v[206:207], v[178:179]
	v_mul_f64 v[44:45], v[206:207], v[176:177]
	v_fma_f64 v[0:1], v[198:199], v[188:189], v[0:1]
	v_fma_f64 v[4:5], v[198:199], v[190:191], -v[4:5]
	v_fma_f64 v[6:7], v[68:69], v[186:187], -v[6:7]
	v_fma_f64 v[2:3], v[68:69], v[184:185], v[2:3]
	v_fma_f64 v[40:41], v[204:205], v[176:177], v[40:41]
	v_fma_f64 v[44:45], v[204:205], v[178:179], -v[44:45]
	s_waitcnt vmcnt(8)
	v_mul_f64 v[46:47], v[202:203], v[172:173]
	s_waitcnt vmcnt(4)
	v_mul_f64 v[48:49], v[194:195], v[158:159]
	v_mul_f64 v[52:53], v[194:195], v[156:157]
	s_clause 0xf
	buffer_load_dword v194, off, s[60:63], 0 offset:272
	buffer_load_dword v195, off, s[60:63], 0 offset:276
	;; [unrolled: 1-line block ×16, first 2 shown]
	s_waitcnt vmcnt(16)
	v_mul_f64 v[50:51], v[98:99], v[166:167]
	v_mul_f64 v[54:55], v[98:99], v[164:165]
	;; [unrolled: 1-line block ×3, first 2 shown]
	s_waitcnt vmcnt(0) lgkmcnt(0)
	s_waitcnt_vscnt null, 0x0
	s_barrier
	buffer_gl0_inv
	v_fma_f64 v[46:47], v[200:201], v[174:175], -v[46:47]
	v_fma_f64 v[48:49], v[192:193], v[156:157], v[48:49]
	v_fma_f64 v[52:53], v[192:193], v[158:159], -v[52:53]
	v_fma_f64 v[50:51], v[96:97], v[164:165], v[50:51]
	;; [unrolled: 2-line block ×3, first 2 shown]
	v_add_f64 v[96:97], v[24:25], v[48:49]
	v_add_f64 v[156:157], v[52:53], -v[54:55]
	v_mul_f64 v[58:59], v[196:197], v[168:169]
	v_mul_f64 v[62:63], v[82:83], v[160:161]
	;; [unrolled: 1-line block ×7, first 2 shown]
	v_add_f64 v[74:75], v[44:45], v[46:47]
	v_add_f64 v[78:79], v[20:21], v[40:41]
	;; [unrolled: 1-line block ×4, first 2 shown]
	v_mul_f64 v[56:57], v[196:197], v[170:171]
	v_fma_f64 v[58:59], v[194:195], v[170:171], -v[58:59]
	v_fma_f64 v[62:63], v[80:81], v[162:163], -v[62:63]
	v_fma_f64 v[32:33], v[76:77], v[32:33], v[64:65]
	v_fma_f64 v[64:65], v[72:73], v[36:37], v[66:67]
	v_add_f64 v[66:67], v[4:5], v[6:7]
	v_add_f64 v[36:37], v[0:1], v[2:3]
	v_fma_f64 v[34:35], v[76:77], v[34:35], -v[68:69]
	v_fma_f64 v[68:69], v[72:73], v[38:39], -v[70:71]
	v_add_f64 v[38:39], v[28:29], v[0:1]
	v_add_f64 v[72:73], v[4:5], -v[6:7]
	v_add_f64 v[4:5], v[30:31], v[4:5]
	v_add_f64 v[76:77], v[0:1], -v[2:3]
	v_add_f64 v[0:1], v[48:49], v[50:51]
	v_fma_f64 v[60:61], v[80:81], v[160:161], v[60:61]
	v_add_f64 v[80:81], v[44:45], -v[46:47]
	v_add_f64 v[44:45], v[22:23], v[44:45]
	v_fma_f64 v[74:75], v[74:75], -0.5, v[22:23]
	v_fma_f64 v[56:57], v[194:195], v[168:169], v[56:57]
	v_add_f64 v[70:71], v[40:41], v[42:43]
	v_add_f64 v[40:41], v[40:41], -v[42:43]
	v_fma_f64 v[82:83], v[82:83], -0.5, v[26:27]
	v_add_f64 v[48:49], v[48:49], -v[50:51]
	v_add_f64 v[158:159], v[58:59], v[62:63]
	v_add_f64 v[164:165], v[12:13], v[32:33]
	;; [unrolled: 1-line block ×3, first 2 shown]
	v_fma_f64 v[30:31], v[66:67], -0.5, v[30:31]
	v_add_f64 v[162:163], v[58:59], -v[62:63]
	v_add_f64 v[58:59], v[18:19], v[58:59]
	v_fma_f64 v[28:29], v[36:37], -0.5, v[28:29]
	v_add_f64 v[36:37], v[34:35], v[68:69]
	v_add_f64 v[170:171], v[14:15], v[34:35]
	v_add_f64 v[168:169], v[34:35], -v[68:69]
	v_fma_f64 v[166:167], v[0:1], -0.5, v[24:25]
	v_add_f64 v[0:1], v[38:39], v[2:3]
	v_add_f64 v[2:3], v[4:5], v[6:7]
	v_add_f64 v[4:5], v[78:79], v[42:43]
	v_add_f64 v[6:7], v[44:45], v[46:47]
	v_add_f64 v[98:99], v[56:57], v[60:61]
	v_add_f64 v[66:67], v[16:17], v[56:57]
	v_fma_f64 v[70:71], v[70:71], -0.5, v[20:21]
	v_fma_f64 v[26:27], v[40:41], s[2:3], v[74:75]
	v_fma_f64 v[34:35], v[48:49], s[8:9], v[82:83]
	;; [unrolled: 1-line block ×3, first 2 shown]
	v_fma_f64 v[78:79], v[158:159], -0.5, v[18:19]
	v_add_f64 v[56:57], v[56:57], -v[60:61]
	v_fma_f64 v[158:159], v[160:161], -0.5, v[12:13]
	v_fma_f64 v[18:19], v[76:77], s[8:9], v[30:31]
	v_fma_f64 v[22:23], v[76:77], s[2:3], v[30:31]
	v_add_f64 v[76:77], v[32:33], -v[64:65]
	v_add_f64 v[30:31], v[52:53], v[54:55]
	v_add_f64 v[52:53], v[164:165], v[64:65]
	buffer_load_dword v64, off, s[60:63], 0 offset:356 ; 4-byte Folded Reload
	v_fma_f64 v[20:21], v[72:73], s[8:9], v[28:29]
	v_add_f64 v[42:43], v[58:59], v[62:63]
	v_fma_f64 v[32:33], v[156:157], s[2:3], v[166:167]
	v_add_f64 v[54:55], v[170:171], v[68:69]
	v_fma_f64 v[98:99], v[98:99], -0.5, v[16:17]
	v_fma_f64 v[16:17], v[72:73], s[2:3], v[28:29]
	v_fma_f64 v[72:73], v[36:37], -0.5, v[14:15]
	v_fma_f64 v[12:13], v[80:81], s[2:3], v[70:71]
	v_fma_f64 v[14:15], v[40:41], s[8:9], v[74:75]
	;; [unrolled: 1-line block ×3, first 2 shown]
	v_add_f64 v[28:29], v[96:97], v[50:51]
	v_fma_f64 v[36:37], v[156:157], s[8:9], v[166:167]
	v_add_f64 v[40:41], v[66:67], v[60:61]
	v_fma_f64 v[46:47], v[56:57], s[8:9], v[78:79]
	v_fma_f64 v[50:51], v[56:57], s[2:3], v[78:79]
	;; [unrolled: 1-line block ×4, first 2 shown]
	s_waitcnt vmcnt(0)
	ds_write_b128 v64, v[0:3]
	ds_write_b128 v64, v[16:19] offset:544
	ds_write_b128 v64, v[20:23] offset:1088
	buffer_load_dword v0, off, s[60:63], 0 offset:352 ; 4-byte Folded Reload
	v_fma_f64 v[44:45], v[162:163], s[2:3], v[98:99]
	v_fma_f64 v[48:49], v[162:163], s[8:9], v[98:99]
	;; [unrolled: 1-line block ×4, first 2 shown]
	s_waitcnt vmcnt(0)
	ds_write_b128 v0, v[4:7]
	ds_write_b128 v0, v[12:15] offset:544
	ds_write_b128 v0, v[24:27] offset:1088
	buffer_load_dword v0, off, s[60:63], 0 offset:384 ; 4-byte Folded Reload
	s_waitcnt vmcnt(0)
	ds_write_b128 v0, v[28:31]
	ds_write_b128 v0, v[32:35] offset:544
	ds_write_b128 v0, v[36:39] offset:1088
	buffer_load_dword v0, off, s[60:63], 0 offset:380 ; 4-byte Folded Reload
	s_waitcnt vmcnt(0)
	ds_write_b128 v0, v[40:43]
	ds_write_b128 v0, v[44:47] offset:544
	ds_write_b128 v0, v[48:51] offset:1088
	buffer_load_dword v0, off, s[60:63], 0 offset:376 ; 4-byte Folded Reload
	s_waitcnt vmcnt(0)
	ds_write_b128 v0, v[52:55]
	ds_write_b128 v0, v[56:59] offset:544
	ds_write_b128 v0, v[60:63] offset:1088
	s_and_saveexec_b32 s1, s0
	s_cbranch_execz .LBB0_21
; %bb.20:
	s_clause 0xb
	buffer_load_dword v16, off, s[60:63], 0 offset:436
	buffer_load_dword v17, off, s[60:63], 0 offset:440
	;; [unrolled: 1-line block ×12, first 2 shown]
	s_waitcnt vmcnt(8)
	v_mul_f64 v[0:1], v[18:19], v[180:181]
	s_waitcnt vmcnt(2)
	v_mul_f64 v[2:3], v[14:15], v[20:21]
	v_mul_f64 v[4:5], v[18:19], v[182:183]
	s_waitcnt vmcnt(0)
	v_mul_f64 v[6:7], v[14:15], v[22:23]
	v_fma_f64 v[0:1], v[16:17], v[182:183], -v[0:1]
	v_fma_f64 v[2:3], v[12:13], v[22:23], -v[2:3]
	v_fma_f64 v[4:5], v[16:17], v[180:181], v[4:5]
	v_fma_f64 v[6:7], v[12:13], v[20:21], v[6:7]
	v_add_f64 v[18:19], v[10:11], v[0:1]
	v_add_f64 v[12:13], v[0:1], v[2:3]
	;; [unrolled: 1-line block ×3, first 2 shown]
	v_add_f64 v[16:17], v[4:5], -v[6:7]
	v_add_f64 v[4:5], v[8:9], v[4:5]
	v_fma_f64 v[10:11], v[12:13], -0.5, v[10:11]
	v_add_f64 v[12:13], v[0:1], -v[2:3]
	v_fma_f64 v[14:15], v[14:15], -0.5, v[8:9]
	v_add_f64 v[2:3], v[18:19], v[2:3]
	v_add_f64 v[0:1], v[4:5], v[6:7]
	v_fma_f64 v[6:7], v[16:17], s[2:3], v[10:11]
	v_fma_f64 v[10:11], v[16:17], s[8:9], v[10:11]
	;; [unrolled: 1-line block ×4, first 2 shown]
	buffer_load_dword v13, off, s[60:63], 0 offset:28 ; 4-byte Folded Reload
	v_mov_b32_e32 v12, 4
	s_waitcnt vmcnt(0)
	v_lshlrev_b32_sdwa v12, v12, v13 dst_sel:DWORD dst_unused:UNUSED_PAD src0_sel:DWORD src1_sel:WORD_0
	ds_write_b128 v12, v[0:3] offset:11424
	ds_write_b128 v12, v[8:11] offset:11968
	;; [unrolled: 1-line block ×3, first 2 shown]
.LBB0_21:
	s_or_b32 exec_lo, exec_lo, s1
	s_waitcnt lgkmcnt(0)
	s_barrier
	buffer_gl0_inv
	ds_read_b128 v[0:3], v252 offset:6528
	ds_read_b128 v[4:7], v252 offset:7344
	;; [unrolled: 1-line block ×8, first 2 shown]
	s_clause 0x3
	buffer_load_dword v96, off, s[60:63], 0 offset:388
	buffer_load_dword v97, off, s[60:63], 0 offset:392
	;; [unrolled: 1-line block ×4, first 2 shown]
	ds_read_b128 v[32:35], v252
	ds_read_b128 v[36:39], v252 offset:816
	ds_read_b128 v[40:43], v252 offset:1632
	;; [unrolled: 1-line block ×5, first 2 shown]
	s_waitcnt lgkmcnt(13)
	v_mul_f64 v[56:57], v[94:95], v[2:3]
	v_mul_f64 v[58:59], v[94:95], v[0:1]
	s_waitcnt lgkmcnt(12)
	v_mul_f64 v[60:61], v[90:91], v[6:7]
	v_mul_f64 v[62:63], v[90:91], v[4:5]
	;; [unrolled: 3-line block ×7, first 2 shown]
	v_fma_f64 v[56:57], v[92:93], v[0:1], v[56:57]
	v_fma_f64 v[58:59], v[92:93], v[2:3], -v[58:59]
	v_fma_f64 v[60:61], v[88:89], v[4:5], v[60:61]
	v_fma_f64 v[62:63], v[88:89], v[6:7], -v[62:63]
	;; [unrolled: 2-line block ×5, first 2 shown]
	ds_read_b128 v[0:3], v252 offset:4896
	ds_read_b128 v[4:7], v252 offset:5712
	s_waitcnt vmcnt(0) lgkmcnt(0)
	s_barrier
	buffer_gl0_inv
	v_fma_f64 v[80:81], v[100:101], v[24:25], v[80:81]
	v_fma_f64 v[82:83], v[100:101], v[26:27], -v[82:83]
	v_fma_f64 v[88:89], v[104:105], v[28:29], v[90:91]
	v_fma_f64 v[90:91], v[104:105], v[30:31], -v[94:95]
	v_add_f64 v[8:9], v[32:33], -v[56:57]
	v_add_f64 v[10:11], v[34:35], -v[58:59]
	;; [unrolled: 1-line block ×12, first 2 shown]
	v_fma_f64 v[32:33], v[32:33], 2.0, -v[8:9]
	v_fma_f64 v[34:35], v[34:35], 2.0, -v[10:11]
	;; [unrolled: 1-line block ×12, first 2 shown]
	v_mul_f64 v[72:73], v[98:99], v[18:19]
	v_mul_f64 v[74:75], v[98:99], v[16:17]
	v_fma_f64 v[72:73], v[96:97], v[16:17], v[72:73]
	v_fma_f64 v[74:75], v[96:97], v[18:19], -v[74:75]
	v_add_f64 v[16:17], v[40:41], -v[64:65]
	v_add_f64 v[18:19], v[42:43], -v[66:67]
	;; [unrolled: 1-line block ×4, first 2 shown]
	v_fma_f64 v[40:41], v[40:41], 2.0, -v[16:17]
	v_fma_f64 v[42:43], v[42:43], 2.0, -v[18:19]
	ds_write_b128 v252, v[8:11] offset:1632
	ds_write_b128 v252, v[12:15] offset:2448
	;; [unrolled: 1-line block ×4, first 2 shown]
	ds_write_b128 v252, v[32:35]
	ds_write_b128 v252, v[36:39] offset:816
	ds_write_b128 v252, v[40:43] offset:3264
	ds_write_b128 v252, v[44:47] offset:4080
	buffer_load_dword v8, off, s[60:63], 0 offset:372 ; 4-byte Folded Reload
	v_fma_f64 v[48:49], v[48:49], 2.0, -v[24:25]
	v_fma_f64 v[50:51], v[50:51], 2.0, -v[26:27]
	s_waitcnt vmcnt(0)
	ds_write_b128 v8, v[48:51] offset:6528
	ds_write_b128 v8, v[24:27] offset:8160
	buffer_load_dword v8, off, s[60:63], 0 offset:368 ; 4-byte Folded Reload
	s_waitcnt vmcnt(0)
	ds_write_b128 v8, v[52:55] offset:6528
	ds_write_b128 v8, v[28:31] offset:8160
	buffer_load_dword v8, off, s[60:63], 0 offset:364 ; 4-byte Folded Reload
	;; [unrolled: 4-line block ×3, first 2 shown]
	s_waitcnt vmcnt(0)
	ds_write_b128 v0, v[4:7] offset:9792
	ds_write_b128 v0, v[60:63] offset:11424
	s_waitcnt lgkmcnt(0)
	s_barrier
	buffer_gl0_inv
	ds_read_b128 v[0:3], v252 offset:6528
	ds_read_b128 v[4:7], v252 offset:7344
	ds_read_b128 v[8:11], v252 offset:8160
	ds_read_b128 v[12:15], v252 offset:8976
	ds_read_b128 v[16:19], v252 offset:9792
	ds_read_b128 v[20:23], v252 offset:10608
	ds_read_b128 v[24:27], v252 offset:11424
	ds_read_b128 v[28:31], v252 offset:12240
	ds_read_b128 v[32:35], v252
	ds_read_b128 v[36:39], v252 offset:816
	ds_read_b128 v[40:43], v252 offset:1632
	;; [unrolled: 1-line block ×5, first 2 shown]
	s_waitcnt lgkmcnt(13)
	v_mul_f64 v[56:57], v[86:87], v[2:3]
	v_mul_f64 v[58:59], v[86:87], v[0:1]
	s_waitcnt lgkmcnt(12)
	v_mul_f64 v[60:61], v[114:115], v[6:7]
	v_mul_f64 v[62:63], v[114:115], v[4:5]
	;; [unrolled: 3-line block ×8, first 2 shown]
	v_fma_f64 v[56:57], v[84:85], v[0:1], v[56:57]
	v_fma_f64 v[58:59], v[84:85], v[2:3], -v[58:59]
	v_fma_f64 v[60:61], v[112:113], v[4:5], v[60:61]
	v_fma_f64 v[62:63], v[112:113], v[6:7], -v[62:63]
	;; [unrolled: 2-line block ×8, first 2 shown]
	ds_read_b128 v[0:3], v252 offset:4896
	ds_read_b128 v[4:7], v252 offset:5712
	s_waitcnt lgkmcnt(0)
	s_barrier
	buffer_gl0_inv
	v_add_f64 v[8:9], v[32:33], -v[56:57]
	v_add_f64 v[10:11], v[34:35], -v[58:59]
	;; [unrolled: 1-line block ×16, first 2 shown]
	v_fma_f64 v[32:33], v[32:33], 2.0, -v[8:9]
	v_fma_f64 v[34:35], v[34:35], 2.0, -v[10:11]
	;; [unrolled: 1-line block ×16, first 2 shown]
	ds_write_b128 v252, v[8:11] offset:3264
	ds_write_b128 v252, v[12:15] offset:4080
	;; [unrolled: 1-line block ×8, first 2 shown]
	ds_write_b128 v252, v[32:35]
	ds_write_b128 v252, v[36:39] offset:816
	ds_write_b128 v252, v[40:43] offset:1632
	;; [unrolled: 1-line block ×7, first 2 shown]
	s_waitcnt lgkmcnt(0)
	s_barrier
	buffer_gl0_inv
	ds_read_b128 v[0:3], v252 offset:6528
	ds_read_b128 v[4:7], v252 offset:7344
	ds_read_b128 v[8:11], v252 offset:8160
	ds_read_b128 v[12:15], v252 offset:8976
	ds_read_b128 v[16:19], v252 offset:9792
	ds_read_b128 v[20:23], v252 offset:10608
	ds_read_b128 v[24:27], v252 offset:11424
	ds_read_b128 v[28:31], v252 offset:12240
	ds_read_b128 v[32:35], v252
	ds_read_b128 v[36:39], v252 offset:816
	ds_read_b128 v[40:43], v252 offset:1632
	;; [unrolled: 1-line block ×5, first 2 shown]
	s_waitcnt lgkmcnt(13)
	v_mul_f64 v[56:57], v[126:127], v[2:3]
	v_mul_f64 v[58:59], v[126:127], v[0:1]
	s_waitcnt lgkmcnt(12)
	v_mul_f64 v[60:61], v[130:131], v[6:7]
	v_mul_f64 v[62:63], v[130:131], v[4:5]
	;; [unrolled: 3-line block ×8, first 2 shown]
	v_fma_f64 v[56:57], v[124:125], v[0:1], v[56:57]
	v_fma_f64 v[58:59], v[124:125], v[2:3], -v[58:59]
	v_fma_f64 v[60:61], v[128:129], v[4:5], v[60:61]
	v_fma_f64 v[62:63], v[128:129], v[6:7], -v[62:63]
	;; [unrolled: 2-line block ×8, first 2 shown]
	ds_read_b128 v[0:3], v252 offset:4896
	ds_read_b128 v[4:7], v252 offset:5712
	s_waitcnt lgkmcnt(7)
	v_add_f64 v[8:9], v[32:33], -v[56:57]
	v_add_f64 v[10:11], v[34:35], -v[58:59]
	s_waitcnt lgkmcnt(6)
	v_add_f64 v[12:13], v[36:37], -v[60:61]
	v_add_f64 v[14:15], v[38:39], -v[62:63]
	;; [unrolled: 3-line block ×8, first 2 shown]
	v_fma_f64 v[32:33], v[32:33], 2.0, -v[8:9]
	v_fma_f64 v[34:35], v[34:35], 2.0, -v[10:11]
	;; [unrolled: 1-line block ×16, first 2 shown]
	ds_write_b128 v252, v[8:11] offset:6528
	ds_write_b128 v252, v[12:15] offset:7344
	;; [unrolled: 1-line block ×8, first 2 shown]
	ds_write_b128 v252, v[32:35]
	ds_write_b128 v252, v[36:39] offset:816
	ds_write_b128 v252, v[40:43] offset:1632
	;; [unrolled: 1-line block ×7, first 2 shown]
	s_waitcnt lgkmcnt(0)
	s_barrier
	buffer_gl0_inv
	s_and_b32 exec_lo, exec_lo, vcc_lo
	s_cbranch_execz .LBB0_23
; %bb.22:
	global_load_dwordx4 v[0:3], v255, s[12:13]
	ds_read_b128 v[4:7], v252
	ds_read_b128 v[8:11], v255 offset:768
	ds_read_b128 v[12:15], v255 offset:12288
	s_clause 0x2
	buffer_load_dword v18, off, s[60:63], 0 offset:4
	buffer_load_dword v19, off, s[60:63], 0 offset:8
	buffer_load_dword v21, off, s[60:63], 0
	s_mov_b32 s0, 0x14141414
	s_mov_b32 s1, 0x3f541414
	s_mul_i32 s2, s5, 0x300
	s_mul_hi_u32 s3, s4, 0x300
	s_mul_i32 s8, s4, 0x600
	s_add_i32 s3, s3, s2
	v_add_co_u32 v24, s2, s12, v255
	v_add_co_ci_u32_e64 v25, null, s13, 0, s2
	s_mul_i32 s2, s5, 0x600
	s_waitcnt vmcnt(3) lgkmcnt(2)
	v_mul_f64 v[16:17], v[6:7], v[2:3]
	v_mul_f64 v[2:3], v[4:5], v[2:3]
	s_waitcnt vmcnt(2)
	v_mov_b32_e32 v20, v18
	s_waitcnt vmcnt(1)
	v_mad_u64_u32 v[18:19], null, s6, v20, 0
	s_mul_i32 s6, s4, 0x300
	v_fma_f64 v[4:5], v[4:5], v[0:1], v[16:17]
	v_fma_f64 v[2:3], v[0:1], v[6:7], -v[2:3]
	s_waitcnt vmcnt(0)
	v_mad_u64_u32 v[6:7], null, s4, v21, 0
	v_mov_b32_e32 v0, v19
	v_mov_b32_e32 v1, v7
	v_mad_u64_u32 v[16:17], null, s7, v20, v[0:1]
	s_mul_hi_u32 s7, s4, 0x600
	s_add_i32 s7, s7, s2
	v_mov_b32_e32 v19, v16
	v_mad_u64_u32 v[20:21], null, s5, v21, v[1:2]
	v_mul_f64 v[0:1], v[4:5], s[0:1]
	v_mul_f64 v[2:3], v[2:3], s[0:1]
	v_lshlrev_b64 v[4:5], 4, v[18:19]
	v_mov_b32_e32 v7, v20
	v_add_co_u32 v22, vcc_lo, s14, v4
	v_add_co_ci_u32_e32 v23, vcc_lo, s15, v5, vcc_lo
	v_lshlrev_b64 v[6:7], 4, v[6:7]
	v_add_co_u32 v4, vcc_lo, v22, v6
	v_add_co_ci_u32_e32 v5, vcc_lo, v23, v7, vcc_lo
	v_add_co_u32 v16, vcc_lo, v4, s6
	global_store_dwordx4 v[4:5], v[0:3], off
	global_load_dwordx4 v[0:3], v255, s[12:13] offset:768
	v_add_co_ci_u32_e32 v17, vcc_lo, s3, v5, vcc_lo
	s_waitcnt vmcnt(0) lgkmcnt(1)
	v_mul_f64 v[6:7], v[10:11], v[2:3]
	v_mul_f64 v[2:3], v[8:9], v[2:3]
	v_fma_f64 v[6:7], v[8:9], v[0:1], v[6:7]
	v_fma_f64 v[2:3], v[0:1], v[10:11], -v[2:3]
	v_mul_f64 v[0:1], v[6:7], s[0:1]
	v_mul_f64 v[2:3], v[2:3], s[0:1]
	global_store_dwordx4 v[16:17], v[0:3], off
	global_load_dwordx4 v[0:3], v255, s[12:13] offset:1536
	ds_read_b128 v[4:7], v255 offset:1536
	ds_read_b128 v[8:11], v255 offset:2304
	buffer_load_dword v26, off, s[60:63], 0 offset:416 ; 4-byte Folded Reload
	s_waitcnt vmcnt(1) lgkmcnt(1)
	v_mul_f64 v[18:19], v[6:7], v[2:3]
	v_mul_f64 v[2:3], v[4:5], v[2:3]
	v_fma_f64 v[4:5], v[4:5], v[0:1], v[18:19]
	v_fma_f64 v[2:3], v[0:1], v[6:7], -v[2:3]
	v_mul_f64 v[0:1], v[4:5], s[0:1]
	v_mul_f64 v[2:3], v[2:3], s[0:1]
	v_add_co_u32 v4, vcc_lo, v16, s6
	v_add_co_ci_u32_e32 v5, vcc_lo, s3, v17, vcc_lo
	v_add_co_u32 v16, vcc_lo, 0x800, v24
	v_add_co_ci_u32_e32 v17, vcc_lo, 0, v25, vcc_lo
	;; [unrolled: 2-line block ×3, first 2 shown]
	global_store_dwordx4 v[4:5], v[0:3], off
	global_load_dwordx4 v[0:3], v[16:17], off offset:256
	s_waitcnt vmcnt(1)
	v_lshlrev_b32_e32 v4, 4, v26
	s_waitcnt vmcnt(0) lgkmcnt(0)
	v_mul_f64 v[6:7], v[10:11], v[2:3]
	v_mul_f64 v[2:3], v[8:9], v[2:3]
	v_fma_f64 v[6:7], v[8:9], v[0:1], v[6:7]
	v_fma_f64 v[2:3], v[0:1], v[10:11], -v[2:3]
	v_mul_f64 v[0:1], v[6:7], s[0:1]
	v_mul_f64 v[2:3], v[2:3], s[0:1]
	global_store_dwordx4 v[18:19], v[0:3], off
	global_load_dwordx4 v[0:3], v4, s[12:13]
	ds_read_b128 v[4:7], v255 offset:3072
	ds_read_b128 v[8:11], v255 offset:3840
	s_waitcnt vmcnt(0) lgkmcnt(1)
	v_mul_f64 v[20:21], v[6:7], v[2:3]
	v_mul_f64 v[2:3], v[4:5], v[2:3]
	v_fma_f64 v[4:5], v[4:5], v[0:1], v[20:21]
	v_fma_f64 v[2:3], v[0:1], v[6:7], -v[2:3]
	v_mad_u64_u32 v[6:7], null, s4, v26, 0
	v_mov_b32_e32 v0, v7
	v_mad_u64_u32 v[20:21], null, s5, v26, v[0:1]
	v_mul_f64 v[0:1], v[4:5], s[0:1]
	v_mul_f64 v[2:3], v[2:3], s[0:1]
	v_mov_b32_e32 v7, v20
	v_lshlrev_b64 v[4:5], 4, v[6:7]
	v_add_co_u32 v4, vcc_lo, v22, v4
	v_add_co_ci_u32_e32 v5, vcc_lo, v23, v5, vcc_lo
	global_store_dwordx4 v[4:5], v[0:3], off
	global_load_dwordx4 v[0:3], v[16:17], off offset:1792
	v_add_co_u32 v16, vcc_lo, v18, s8
	v_add_co_ci_u32_e32 v17, vcc_lo, s7, v19, vcc_lo
	v_add_co_u32 v18, vcc_lo, 0x1000, v24
	v_add_co_ci_u32_e32 v19, vcc_lo, 0, v25, vcc_lo
	s_waitcnt vmcnt(0) lgkmcnt(0)
	v_mul_f64 v[4:5], v[10:11], v[2:3]
	v_mul_f64 v[2:3], v[8:9], v[2:3]
	v_fma_f64 v[4:5], v[8:9], v[0:1], v[4:5]
	v_fma_f64 v[2:3], v[0:1], v[10:11], -v[2:3]
	v_mul_f64 v[0:1], v[4:5], s[0:1]
	v_mul_f64 v[2:3], v[2:3], s[0:1]
	global_store_dwordx4 v[16:17], v[0:3], off
	global_load_dwordx4 v[0:3], v[18:19], off offset:512
	ds_read_b128 v[4:7], v255 offset:4608
	ds_read_b128 v[8:11], v255 offset:5376
	s_waitcnt vmcnt(0) lgkmcnt(1)
	v_mul_f64 v[20:21], v[6:7], v[2:3]
	v_mul_f64 v[2:3], v[4:5], v[2:3]
	v_fma_f64 v[4:5], v[4:5], v[0:1], v[20:21]
	v_fma_f64 v[2:3], v[0:1], v[6:7], -v[2:3]
	buffer_load_dword v20, off, s[60:63], 0 offset:412 ; 4-byte Folded Reload
	v_mul_f64 v[0:1], v[4:5], s[0:1]
	v_mul_f64 v[2:3], v[2:3], s[0:1]
	v_add_co_u32 v4, vcc_lo, v16, s6
	v_add_co_ci_u32_e32 v5, vcc_lo, s3, v17, vcc_lo
	v_add_co_u32 v16, vcc_lo, v4, s6
	v_add_co_ci_u32_e32 v17, vcc_lo, s3, v5, vcc_lo
	global_store_dwordx4 v[4:5], v[0:3], off
	global_load_dwordx4 v[0:3], v[18:19], off offset:1280
	s_waitcnt vmcnt(1)
	v_lshlrev_b32_e32 v4, 4, v20
	s_waitcnt vmcnt(0) lgkmcnt(0)
	v_mul_f64 v[6:7], v[10:11], v[2:3]
	v_mul_f64 v[2:3], v[8:9], v[2:3]
	v_fma_f64 v[6:7], v[8:9], v[0:1], v[6:7]
	v_fma_f64 v[2:3], v[0:1], v[10:11], -v[2:3]
	v_mul_f64 v[0:1], v[6:7], s[0:1]
	v_mul_f64 v[2:3], v[2:3], s[0:1]
	global_store_dwordx4 v[16:17], v[0:3], off
	global_load_dwordx4 v[0:3], v4, s[12:13]
	ds_read_b128 v[4:7], v255 offset:6144
	ds_read_b128 v[8:11], v255 offset:6912
	s_waitcnt vmcnt(0) lgkmcnt(1)
	v_mul_f64 v[18:19], v[6:7], v[2:3]
	v_mul_f64 v[2:3], v[4:5], v[2:3]
	v_fma_f64 v[4:5], v[4:5], v[0:1], v[18:19]
	v_fma_f64 v[2:3], v[0:1], v[6:7], -v[2:3]
	v_mad_u64_u32 v[6:7], null, s4, v20, 0
	v_mov_b32_e32 v0, v7
	v_mad_u64_u32 v[18:19], null, s5, v20, v[0:1]
	v_mul_f64 v[0:1], v[4:5], s[0:1]
	v_mul_f64 v[2:3], v[2:3], s[0:1]
	v_mov_b32_e32 v7, v18
	v_lshlrev_b64 v[4:5], 4, v[6:7]
	v_add_co_u32 v4, vcc_lo, v22, v4
	v_add_co_ci_u32_e32 v5, vcc_lo, v23, v5, vcc_lo
	v_add_co_u32 v6, vcc_lo, 0x1800, v24
	v_add_co_ci_u32_e32 v7, vcc_lo, 0, v25, vcc_lo
	v_add_co_u32 v16, vcc_lo, v16, s8
	global_store_dwordx4 v[4:5], v[0:3], off
	global_load_dwordx4 v[0:3], v[6:7], off offset:768
	v_add_co_ci_u32_e32 v17, vcc_lo, s7, v17, vcc_lo
	s_waitcnt vmcnt(0) lgkmcnt(0)
	v_mul_f64 v[4:5], v[10:11], v[2:3]
	v_mul_f64 v[2:3], v[8:9], v[2:3]
	v_fma_f64 v[4:5], v[8:9], v[0:1], v[4:5]
	v_fma_f64 v[2:3], v[0:1], v[10:11], -v[2:3]
	v_mul_f64 v[0:1], v[4:5], s[0:1]
	v_mul_f64 v[2:3], v[2:3], s[0:1]
	global_store_dwordx4 v[16:17], v[0:3], off
	global_load_dwordx4 v[0:3], v[6:7], off offset:1536
	ds_read_b128 v[4:7], v255 offset:7680
	ds_read_b128 v[8:11], v255 offset:8448
	buffer_load_dword v26, off, s[60:63], 0 offset:408 ; 4-byte Folded Reload
	s_waitcnt vmcnt(1) lgkmcnt(1)
	v_mul_f64 v[18:19], v[6:7], v[2:3]
	v_mul_f64 v[2:3], v[4:5], v[2:3]
	v_fma_f64 v[4:5], v[4:5], v[0:1], v[18:19]
	v_fma_f64 v[2:3], v[0:1], v[6:7], -v[2:3]
	v_mul_f64 v[0:1], v[4:5], s[0:1]
	v_mul_f64 v[2:3], v[2:3], s[0:1]
	v_add_co_u32 v4, vcc_lo, v16, s6
	v_add_co_ci_u32_e32 v5, vcc_lo, s3, v17, vcc_lo
	v_add_co_u32 v16, vcc_lo, 0x2000, v24
	v_add_co_ci_u32_e32 v17, vcc_lo, 0, v25, vcc_lo
	;; [unrolled: 2-line block ×3, first 2 shown]
	global_store_dwordx4 v[4:5], v[0:3], off
	global_load_dwordx4 v[0:3], v[16:17], off offset:256
	s_waitcnt vmcnt(1)
	v_lshlrev_b32_e32 v4, 4, v26
	s_waitcnt vmcnt(0) lgkmcnt(0)
	v_mul_f64 v[6:7], v[10:11], v[2:3]
	v_mul_f64 v[2:3], v[8:9], v[2:3]
	v_fma_f64 v[6:7], v[8:9], v[0:1], v[6:7]
	v_fma_f64 v[2:3], v[0:1], v[10:11], -v[2:3]
	v_mul_f64 v[0:1], v[6:7], s[0:1]
	v_mul_f64 v[2:3], v[2:3], s[0:1]
	global_store_dwordx4 v[18:19], v[0:3], off
	global_load_dwordx4 v[0:3], v4, s[12:13]
	ds_read_b128 v[4:7], v255 offset:9216
	ds_read_b128 v[8:11], v255 offset:9984
	s_waitcnt vmcnt(0) lgkmcnt(1)
	v_mul_f64 v[20:21], v[6:7], v[2:3]
	v_mul_f64 v[2:3], v[4:5], v[2:3]
	v_fma_f64 v[4:5], v[4:5], v[0:1], v[20:21]
	v_fma_f64 v[2:3], v[0:1], v[6:7], -v[2:3]
	v_mad_u64_u32 v[6:7], null, s4, v26, 0
	v_mov_b32_e32 v0, v7
	v_mad_u64_u32 v[20:21], null, s5, v26, v[0:1]
	v_mul_f64 v[0:1], v[4:5], s[0:1]
	v_mul_f64 v[2:3], v[2:3], s[0:1]
	v_mov_b32_e32 v7, v20
	v_lshlrev_b64 v[4:5], 4, v[6:7]
	v_add_co_u32 v4, vcc_lo, v22, v4
	v_add_co_ci_u32_e32 v5, vcc_lo, v23, v5, vcc_lo
	global_store_dwordx4 v[4:5], v[0:3], off
	global_load_dwordx4 v[0:3], v[16:17], off offset:1792
	v_add_co_u32 v16, vcc_lo, v18, s8
	v_add_co_ci_u32_e32 v17, vcc_lo, s7, v19, vcc_lo
	v_add_co_u32 v18, vcc_lo, 0x2800, v24
	v_add_co_ci_u32_e32 v19, vcc_lo, 0, v25, vcc_lo
	s_waitcnt vmcnt(0) lgkmcnt(0)
	v_mul_f64 v[4:5], v[10:11], v[2:3]
	v_mul_f64 v[2:3], v[8:9], v[2:3]
	v_fma_f64 v[4:5], v[8:9], v[0:1], v[4:5]
	v_fma_f64 v[2:3], v[0:1], v[10:11], -v[2:3]
	v_mul_f64 v[0:1], v[4:5], s[0:1]
	v_mul_f64 v[2:3], v[2:3], s[0:1]
	global_store_dwordx4 v[16:17], v[0:3], off
	global_load_dwordx4 v[0:3], v[18:19], off offset:512
	ds_read_b128 v[4:7], v255 offset:10752
	ds_read_b128 v[8:11], v255 offset:11520
	s_waitcnt vmcnt(0) lgkmcnt(1)
	v_mul_f64 v[20:21], v[6:7], v[2:3]
	v_mul_f64 v[2:3], v[4:5], v[2:3]
	v_fma_f64 v[4:5], v[4:5], v[0:1], v[20:21]
	v_fma_f64 v[2:3], v[0:1], v[6:7], -v[2:3]
	v_mul_f64 v[0:1], v[4:5], s[0:1]
	v_mul_f64 v[2:3], v[2:3], s[0:1]
	v_add_co_u32 v4, vcc_lo, v16, s6
	v_add_co_ci_u32_e32 v5, vcc_lo, s3, v17, vcc_lo
	global_store_dwordx4 v[4:5], v[0:3], off
	global_load_dwordx4 v[0:3], v[18:19], off offset:1280
	v_add_co_u32 v4, vcc_lo, v4, s6
	v_add_co_ci_u32_e32 v5, vcc_lo, s3, v5, vcc_lo
	s_waitcnt vmcnt(0) lgkmcnt(0)
	v_mul_f64 v[6:7], v[10:11], v[2:3]
	v_mul_f64 v[2:3], v[8:9], v[2:3]
	v_fma_f64 v[6:7], v[8:9], v[0:1], v[6:7]
	buffer_load_dword v8, off, s[60:63], 0 offset:404 ; 4-byte Folded Reload
	v_fma_f64 v[2:3], v[0:1], v[10:11], -v[2:3]
	v_mul_f64 v[0:1], v[6:7], s[0:1]
	v_mul_f64 v[2:3], v[2:3], s[0:1]
	global_store_dwordx4 v[4:5], v[0:3], off
	s_waitcnt vmcnt(0)
	v_lshlrev_b32_e32 v6, 4, v8
	global_load_dwordx4 v[0:3], v6, s[12:13]
	v_mad_u64_u32 v[6:7], null, s4, v8, 0
	s_waitcnt vmcnt(0)
	v_mul_f64 v[4:5], v[14:15], v[2:3]
	v_mul_f64 v[2:3], v[12:13], v[2:3]
	v_fma_f64 v[4:5], v[12:13], v[0:1], v[4:5]
	v_fma_f64 v[2:3], v[0:1], v[14:15], -v[2:3]
	v_mov_b32_e32 v0, v7
	v_mad_u64_u32 v[7:8], null, s5, v8, v[0:1]
	v_mul_f64 v[0:1], v[4:5], s[0:1]
	v_mul_f64 v[2:3], v[2:3], s[0:1]
	v_lshlrev_b64 v[4:5], 4, v[6:7]
	v_add_co_u32 v4, vcc_lo, v22, v4
	v_add_co_ci_u32_e32 v5, vcc_lo, v23, v5, vcc_lo
	global_store_dwordx4 v[4:5], v[0:3], off
.LBB0_23:
	s_endpgm
	.section	.rodata,"a",@progbits
	.p2align	6, 0x0
	.amdhsa_kernel bluestein_single_fwd_len816_dim1_dp_op_CI_CI
		.amdhsa_group_segment_fixed_size 13056
		.amdhsa_private_segment_fixed_size 456
		.amdhsa_kernarg_size 104
		.amdhsa_user_sgpr_count 6
		.amdhsa_user_sgpr_private_segment_buffer 1
		.amdhsa_user_sgpr_dispatch_ptr 0
		.amdhsa_user_sgpr_queue_ptr 0
		.amdhsa_user_sgpr_kernarg_segment_ptr 1
		.amdhsa_user_sgpr_dispatch_id 0
		.amdhsa_user_sgpr_flat_scratch_init 0
		.amdhsa_user_sgpr_private_segment_size 0
		.amdhsa_wavefront_size32 1
		.amdhsa_uses_dynamic_stack 0
		.amdhsa_system_sgpr_private_segment_wavefront_offset 1
		.amdhsa_system_sgpr_workgroup_id_x 1
		.amdhsa_system_sgpr_workgroup_id_y 0
		.amdhsa_system_sgpr_workgroup_id_z 0
		.amdhsa_system_sgpr_workgroup_info 0
		.amdhsa_system_vgpr_workitem_id 0
		.amdhsa_next_free_vgpr 256
		.amdhsa_next_free_sgpr 64
		.amdhsa_reserve_vcc 1
		.amdhsa_reserve_flat_scratch 0
		.amdhsa_float_round_mode_32 0
		.amdhsa_float_round_mode_16_64 0
		.amdhsa_float_denorm_mode_32 3
		.amdhsa_float_denorm_mode_16_64 3
		.amdhsa_dx10_clamp 1
		.amdhsa_ieee_mode 1
		.amdhsa_fp16_overflow 0
		.amdhsa_workgroup_processor_mode 1
		.amdhsa_memory_ordered 1
		.amdhsa_forward_progress 0
		.amdhsa_shared_vgpr_count 0
		.amdhsa_exception_fp_ieee_invalid_op 0
		.amdhsa_exception_fp_denorm_src 0
		.amdhsa_exception_fp_ieee_div_zero 0
		.amdhsa_exception_fp_ieee_overflow 0
		.amdhsa_exception_fp_ieee_underflow 0
		.amdhsa_exception_fp_ieee_inexact 0
		.amdhsa_exception_int_div_zero 0
	.end_amdhsa_kernel
	.text
.Lfunc_end0:
	.size	bluestein_single_fwd_len816_dim1_dp_op_CI_CI, .Lfunc_end0-bluestein_single_fwd_len816_dim1_dp_op_CI_CI
                                        ; -- End function
	.section	.AMDGPU.csdata,"",@progbits
; Kernel info:
; codeLenInByte = 31520
; NumSgprs: 66
; NumVgprs: 256
; ScratchSize: 456
; MemoryBound: 0
; FloatMode: 240
; IeeeMode: 1
; LDSByteSize: 13056 bytes/workgroup (compile time only)
; SGPRBlocks: 8
; VGPRBlocks: 31
; NumSGPRsForWavesPerEU: 66
; NumVGPRsForWavesPerEU: 256
; Occupancy: 4
; WaveLimiterHint : 1
; COMPUTE_PGM_RSRC2:SCRATCH_EN: 1
; COMPUTE_PGM_RSRC2:USER_SGPR: 6
; COMPUTE_PGM_RSRC2:TRAP_HANDLER: 0
; COMPUTE_PGM_RSRC2:TGID_X_EN: 1
; COMPUTE_PGM_RSRC2:TGID_Y_EN: 0
; COMPUTE_PGM_RSRC2:TGID_Z_EN: 0
; COMPUTE_PGM_RSRC2:TIDIG_COMP_CNT: 0
	.text
	.p2alignl 6, 3214868480
	.fill 48, 4, 3214868480
	.type	__hip_cuid_1c850bf83b02d758,@object ; @__hip_cuid_1c850bf83b02d758
	.section	.bss,"aw",@nobits
	.globl	__hip_cuid_1c850bf83b02d758
__hip_cuid_1c850bf83b02d758:
	.byte	0                               ; 0x0
	.size	__hip_cuid_1c850bf83b02d758, 1

	.ident	"AMD clang version 19.0.0git (https://github.com/RadeonOpenCompute/llvm-project roc-6.4.0 25133 c7fe45cf4b819c5991fe208aaa96edf142730f1d)"
	.section	".note.GNU-stack","",@progbits
	.addrsig
	.addrsig_sym __hip_cuid_1c850bf83b02d758
	.amdgpu_metadata
---
amdhsa.kernels:
  - .args:
      - .actual_access:  read_only
        .address_space:  global
        .offset:         0
        .size:           8
        .value_kind:     global_buffer
      - .actual_access:  read_only
        .address_space:  global
        .offset:         8
        .size:           8
        .value_kind:     global_buffer
      - .actual_access:  read_only
        .address_space:  global
        .offset:         16
        .size:           8
        .value_kind:     global_buffer
      - .actual_access:  read_only
        .address_space:  global
        .offset:         24
        .size:           8
        .value_kind:     global_buffer
      - .actual_access:  read_only
        .address_space:  global
        .offset:         32
        .size:           8
        .value_kind:     global_buffer
      - .offset:         40
        .size:           8
        .value_kind:     by_value
      - .address_space:  global
        .offset:         48
        .size:           8
        .value_kind:     global_buffer
      - .address_space:  global
        .offset:         56
        .size:           8
        .value_kind:     global_buffer
      - .address_space:  global
        .offset:         64
        .size:           8
        .value_kind:     global_buffer
      - .address_space:  global
        .offset:         72
        .size:           8
        .value_kind:     global_buffer
      - .offset:         80
        .size:           4
        .value_kind:     by_value
      - .address_space:  global
        .offset:         88
        .size:           8
        .value_kind:     global_buffer
      - .address_space:  global
        .offset:         96
        .size:           8
        .value_kind:     global_buffer
    .group_segment_fixed_size: 13056
    .kernarg_segment_align: 8
    .kernarg_segment_size: 104
    .language:       OpenCL C
    .language_version:
      - 2
      - 0
    .max_flat_workgroup_size: 51
    .name:           bluestein_single_fwd_len816_dim1_dp_op_CI_CI
    .private_segment_fixed_size: 456
    .sgpr_count:     66
    .sgpr_spill_count: 0
    .symbol:         bluestein_single_fwd_len816_dim1_dp_op_CI_CI.kd
    .uniform_work_group_size: 1
    .uses_dynamic_stack: false
    .vgpr_count:     256
    .vgpr_spill_count: 117
    .wavefront_size: 32
    .workgroup_processor_mode: 1
amdhsa.target:   amdgcn-amd-amdhsa--gfx1030
amdhsa.version:
  - 1
  - 2
...

	.end_amdgpu_metadata
